;; amdgpu-corpus repo=ROCm/rocFFT kind=compiled arch=gfx1030 opt=O3
	.text
	.amdgcn_target "amdgcn-amd-amdhsa--gfx1030"
	.amdhsa_code_object_version 6
	.protected	fft_rtc_fwd_len1248_factors_2_2_13_2_3_2_2_wgs_52_tpt_52_halfLds_dp_ip_CI_unitstride_sbrr_dirReg ; -- Begin function fft_rtc_fwd_len1248_factors_2_2_13_2_3_2_2_wgs_52_tpt_52_halfLds_dp_ip_CI_unitstride_sbrr_dirReg
	.globl	fft_rtc_fwd_len1248_factors_2_2_13_2_3_2_2_wgs_52_tpt_52_halfLds_dp_ip_CI_unitstride_sbrr_dirReg
	.p2align	8
	.type	fft_rtc_fwd_len1248_factors_2_2_13_2_3_2_2_wgs_52_tpt_52_halfLds_dp_ip_CI_unitstride_sbrr_dirReg,@function
fft_rtc_fwd_len1248_factors_2_2_13_2_3_2_2_wgs_52_tpt_52_halfLds_dp_ip_CI_unitstride_sbrr_dirReg: ; @fft_rtc_fwd_len1248_factors_2_2_13_2_3_2_2_wgs_52_tpt_52_halfLds_dp_ip_CI_unitstride_sbrr_dirReg
; %bb.0:
	s_mov_b64 s[46:47], s[2:3]
	s_mov_b64 s[44:45], s[0:1]
	s_clause 0x2
	s_load_dwordx4 s[8:11], s[4:5], 0x0
	s_load_dwordx2 s[2:3], s[4:5], 0x50
	s_load_dwordx2 s[12:13], s[4:5], 0x18
	v_mul_u32_u24_e32 v1, 0x4ed, v0
	v_mov_b32_e32 v3, 0
	s_add_u32 s44, s44, s7
	s_addc_u32 s45, s45, 0
	v_add_nc_u32_sdwa v5, s6, v1 dst_sel:DWORD dst_unused:UNUSED_PAD src0_sel:DWORD src1_sel:WORD_1
	v_mov_b32_e32 v1, 0
	v_mov_b32_e32 v6, v3
	;; [unrolled: 1-line block ×3, first 2 shown]
	s_waitcnt lgkmcnt(0)
	v_cmp_lt_u64_e64 s0, s[10:11], 2
	s_and_b32 vcc_lo, exec_lo, s0
	s_cbranch_vccnz .LBB0_8
; %bb.1:
	s_load_dwordx2 s[0:1], s[4:5], 0x10
	v_mov_b32_e32 v1, 0
	s_add_u32 s6, s12, 8
	v_mov_b32_e32 v2, 0
	s_addc_u32 s7, s13, 0
	s_mov_b64 s[16:17], 1
	s_waitcnt lgkmcnt(0)
	s_add_u32 s14, s0, 8
	s_addc_u32 s15, s1, 0
.LBB0_2:                                ; =>This Inner Loop Header: Depth=1
	s_load_dwordx2 s[18:19], s[14:15], 0x0
                                        ; implicit-def: $vgpr7_vgpr8
	s_mov_b32 s0, exec_lo
	s_waitcnt lgkmcnt(0)
	v_or_b32_e32 v4, s19, v6
	v_cmpx_ne_u64_e32 0, v[3:4]
	s_xor_b32 s1, exec_lo, s0
	s_cbranch_execz .LBB0_4
; %bb.3:                                ;   in Loop: Header=BB0_2 Depth=1
	v_cvt_f32_u32_e32 v4, s18
	v_cvt_f32_u32_e32 v7, s19
	s_sub_u32 s0, 0, s18
	s_subb_u32 s20, 0, s19
	v_fmac_f32_e32 v4, 0x4f800000, v7
	v_rcp_f32_e32 v4, v4
	v_mul_f32_e32 v4, 0x5f7ffffc, v4
	v_mul_f32_e32 v7, 0x2f800000, v4
	v_trunc_f32_e32 v7, v7
	v_fmac_f32_e32 v4, 0xcf800000, v7
	v_cvt_u32_f32_e32 v7, v7
	v_cvt_u32_f32_e32 v4, v4
	v_mul_lo_u32 v8, s0, v7
	v_mul_hi_u32 v9, s0, v4
	v_mul_lo_u32 v10, s20, v4
	v_add_nc_u32_e32 v8, v9, v8
	v_mul_lo_u32 v9, s0, v4
	v_add_nc_u32_e32 v8, v8, v10
	v_mul_hi_u32 v10, v4, v9
	v_mul_lo_u32 v11, v4, v8
	v_mul_hi_u32 v12, v4, v8
	v_mul_hi_u32 v13, v7, v9
	v_mul_lo_u32 v9, v7, v9
	v_mul_hi_u32 v14, v7, v8
	v_mul_lo_u32 v8, v7, v8
	v_add_co_u32 v10, vcc_lo, v10, v11
	v_add_co_ci_u32_e32 v11, vcc_lo, 0, v12, vcc_lo
	v_add_co_u32 v9, vcc_lo, v10, v9
	v_add_co_ci_u32_e32 v9, vcc_lo, v11, v13, vcc_lo
	v_add_co_ci_u32_e32 v10, vcc_lo, 0, v14, vcc_lo
	v_add_co_u32 v8, vcc_lo, v9, v8
	v_add_co_ci_u32_e32 v9, vcc_lo, 0, v10, vcc_lo
	v_add_co_u32 v4, vcc_lo, v4, v8
	v_add_co_ci_u32_e32 v7, vcc_lo, v7, v9, vcc_lo
	v_mul_hi_u32 v8, s0, v4
	v_mul_lo_u32 v10, s20, v4
	v_mul_lo_u32 v9, s0, v7
	v_add_nc_u32_e32 v8, v8, v9
	v_mul_lo_u32 v9, s0, v4
	v_add_nc_u32_e32 v8, v8, v10
	v_mul_hi_u32 v10, v4, v9
	v_mul_lo_u32 v11, v4, v8
	v_mul_hi_u32 v12, v4, v8
	v_mul_hi_u32 v13, v7, v9
	v_mul_lo_u32 v9, v7, v9
	v_mul_hi_u32 v14, v7, v8
	v_mul_lo_u32 v8, v7, v8
	v_add_co_u32 v10, vcc_lo, v10, v11
	v_add_co_ci_u32_e32 v11, vcc_lo, 0, v12, vcc_lo
	v_add_co_u32 v9, vcc_lo, v10, v9
	v_add_co_ci_u32_e32 v9, vcc_lo, v11, v13, vcc_lo
	v_add_co_ci_u32_e32 v10, vcc_lo, 0, v14, vcc_lo
	v_add_co_u32 v8, vcc_lo, v9, v8
	v_add_co_ci_u32_e32 v9, vcc_lo, 0, v10, vcc_lo
	v_add_co_u32 v4, vcc_lo, v4, v8
	v_add_co_ci_u32_e32 v11, vcc_lo, v7, v9, vcc_lo
	v_mul_hi_u32 v13, v5, v4
	v_mad_u64_u32 v[9:10], null, v6, v4, 0
	v_mad_u64_u32 v[7:8], null, v5, v11, 0
	;; [unrolled: 1-line block ×3, first 2 shown]
	v_add_co_u32 v4, vcc_lo, v13, v7
	v_add_co_ci_u32_e32 v7, vcc_lo, 0, v8, vcc_lo
	v_add_co_u32 v4, vcc_lo, v4, v9
	v_add_co_ci_u32_e32 v4, vcc_lo, v7, v10, vcc_lo
	v_add_co_ci_u32_e32 v7, vcc_lo, 0, v12, vcc_lo
	v_add_co_u32 v4, vcc_lo, v4, v11
	v_add_co_ci_u32_e32 v9, vcc_lo, 0, v7, vcc_lo
	v_mul_lo_u32 v10, s19, v4
	v_mad_u64_u32 v[7:8], null, s18, v4, 0
	v_mul_lo_u32 v11, s18, v9
	v_sub_co_u32 v7, vcc_lo, v5, v7
	v_add3_u32 v8, v8, v11, v10
	v_sub_nc_u32_e32 v10, v6, v8
	v_subrev_co_ci_u32_e64 v10, s0, s19, v10, vcc_lo
	v_add_co_u32 v11, s0, v4, 2
	v_add_co_ci_u32_e64 v12, s0, 0, v9, s0
	v_sub_co_u32 v13, s0, v7, s18
	v_sub_co_ci_u32_e32 v8, vcc_lo, v6, v8, vcc_lo
	v_subrev_co_ci_u32_e64 v10, s0, 0, v10, s0
	v_cmp_le_u32_e32 vcc_lo, s18, v13
	v_cmp_eq_u32_e64 s0, s19, v8
	v_cndmask_b32_e64 v13, 0, -1, vcc_lo
	v_cmp_le_u32_e32 vcc_lo, s19, v10
	v_cndmask_b32_e64 v14, 0, -1, vcc_lo
	v_cmp_le_u32_e32 vcc_lo, s18, v7
	;; [unrolled: 2-line block ×3, first 2 shown]
	v_cndmask_b32_e64 v15, 0, -1, vcc_lo
	v_cmp_eq_u32_e32 vcc_lo, s19, v10
	v_cndmask_b32_e64 v7, v15, v7, s0
	v_cndmask_b32_e32 v10, v14, v13, vcc_lo
	v_add_co_u32 v13, vcc_lo, v4, 1
	v_add_co_ci_u32_e32 v14, vcc_lo, 0, v9, vcc_lo
	v_cmp_ne_u32_e32 vcc_lo, 0, v10
	v_cndmask_b32_e32 v8, v14, v12, vcc_lo
	v_cndmask_b32_e32 v10, v13, v11, vcc_lo
	v_cmp_ne_u32_e32 vcc_lo, 0, v7
	v_cndmask_b32_e32 v8, v9, v8, vcc_lo
	v_cndmask_b32_e32 v7, v4, v10, vcc_lo
.LBB0_4:                                ;   in Loop: Header=BB0_2 Depth=1
	s_andn2_saveexec_b32 s0, s1
	s_cbranch_execz .LBB0_6
; %bb.5:                                ;   in Loop: Header=BB0_2 Depth=1
	v_cvt_f32_u32_e32 v4, s18
	s_sub_i32 s1, 0, s18
	v_rcp_iflag_f32_e32 v4, v4
	v_mul_f32_e32 v4, 0x4f7ffffe, v4
	v_cvt_u32_f32_e32 v4, v4
	v_mul_lo_u32 v7, s1, v4
	v_mul_hi_u32 v7, v4, v7
	v_add_nc_u32_e32 v4, v4, v7
	v_mul_hi_u32 v4, v5, v4
	v_mul_lo_u32 v7, v4, s18
	v_add_nc_u32_e32 v8, 1, v4
	v_sub_nc_u32_e32 v7, v5, v7
	v_subrev_nc_u32_e32 v9, s18, v7
	v_cmp_le_u32_e32 vcc_lo, s18, v7
	v_cndmask_b32_e32 v7, v7, v9, vcc_lo
	v_cndmask_b32_e32 v4, v4, v8, vcc_lo
	v_cmp_le_u32_e32 vcc_lo, s18, v7
	v_add_nc_u32_e32 v8, 1, v4
	v_cndmask_b32_e32 v7, v4, v8, vcc_lo
	v_mov_b32_e32 v8, v3
.LBB0_6:                                ;   in Loop: Header=BB0_2 Depth=1
	s_or_b32 exec_lo, exec_lo, s0
	s_load_dwordx2 s[0:1], s[6:7], 0x0
	v_mul_lo_u32 v4, v8, s18
	v_mul_lo_u32 v11, v7, s19
	v_mad_u64_u32 v[9:10], null, v7, s18, 0
	s_add_u32 s16, s16, 1
	s_addc_u32 s17, s17, 0
	s_add_u32 s6, s6, 8
	s_addc_u32 s7, s7, 0
	;; [unrolled: 2-line block ×3, first 2 shown]
	v_add3_u32 v4, v10, v11, v4
	v_sub_co_u32 v5, vcc_lo, v5, v9
	v_sub_co_ci_u32_e32 v4, vcc_lo, v6, v4, vcc_lo
	s_waitcnt lgkmcnt(0)
	v_mul_lo_u32 v6, s1, v5
	v_mul_lo_u32 v4, s0, v4
	v_mad_u64_u32 v[1:2], null, s0, v5, v[1:2]
	v_cmp_ge_u64_e64 s0, s[16:17], s[10:11]
	s_and_b32 vcc_lo, exec_lo, s0
	v_add3_u32 v2, v6, v2, v4
	s_cbranch_vccnz .LBB0_9
; %bb.7:                                ;   in Loop: Header=BB0_2 Depth=1
	v_mov_b32_e32 v5, v7
	v_mov_b32_e32 v6, v8
	s_branch .LBB0_2
.LBB0_8:
	v_mov_b32_e32 v8, v6
	v_mov_b32_e32 v7, v5
.LBB0_9:
	s_lshl_b64 s[0:1], s[10:11], 3
	v_mul_hi_u32 v3, 0x4ec4ec5, v0
	s_add_u32 s0, s12, s0
	s_addc_u32 s1, s13, s1
                                        ; implicit-def: $vgpr58_vgpr59
                                        ; implicit-def: $vgpr42_vgpr43
                                        ; implicit-def: $vgpr62_vgpr63
                                        ; implicit-def: $vgpr46_vgpr47
                                        ; implicit-def: $vgpr66_vgpr67
                                        ; implicit-def: $vgpr50_vgpr51
                                        ; implicit-def: $vgpr74_vgpr75
                                        ; implicit-def: $vgpr54_vgpr55
                                        ; implicit-def: $vgpr70_vgpr71
                                        ; implicit-def: $vgpr34_vgpr35
                                        ; implicit-def: $vgpr78_vgpr79
                                        ; implicit-def: $vgpr22_vgpr23
                                        ; implicit-def: $vgpr30_vgpr31
                                        ; implicit-def: $vgpr18_vgpr19
                                        ; implicit-def: $vgpr38_vgpr39
                                        ; implicit-def: $vgpr10_vgpr11
                                        ; implicit-def: $vgpr14_vgpr15
                                        ; implicit-def: $vgpr82_vgpr83
                                        ; implicit-def: $vgpr26_vgpr27
                                        ; implicit-def: $vgpr86_vgpr87
                                        ; implicit-def: $vgpr94_vgpr95
                                        ; implicit-def: $vgpr90_vgpr91
	s_load_dwordx2 s[0:1], s[0:1], 0x0
	s_load_dwordx2 s[4:5], s[4:5], 0x20
	v_mul_u32_u24_e32 v3, 52, v3
	v_sub_nc_u32_e32 v144, v0, v3
	s_waitcnt lgkmcnt(0)
	v_mul_lo_u32 v4, s0, v8
	v_mul_lo_u32 v5, s1, v7
	v_mad_u64_u32 v[1:2], null, s0, v7, v[1:2]
	v_cmp_gt_u64_e32 vcc_lo, s[4:5], v[7:8]
                                        ; implicit-def: $vgpr6_vgpr7
	v_add3_u32 v2, v5, v2, v4
	v_lshlrev_b64 v[0:1], 4, v[1:2]
                                        ; implicit-def: $vgpr2_vgpr3
	buffer_store_dword v0, off, s[44:47], 0 offset:8 ; 4-byte Folded Spill
	buffer_store_dword v1, off, s[44:47], 0 offset:12 ; 4-byte Folded Spill
	v_or_b32_e32 v0, 0x340, v144
	buffer_store_dword v0, off, s[44:47], 0 ; 4-byte Folded Spill
	buffer_store_dword v1, off, s[44:47], 0 offset:4 ; 4-byte Folded Spill
	s_and_saveexec_b32 s1, vcc_lo
	s_cbranch_execz .LBB0_11
; %bb.10:
	s_clause 0x1
	buffer_load_dword v2, off, s[44:47], 0 offset:8
	buffer_load_dword v3, off, s[44:47], 0 offset:12
	v_mov_b32_e32 v145, 0
	v_lshlrev_b64 v[0:1], 4, v[144:145]
	s_waitcnt vmcnt(1)
	v_add_co_u32 v4, s0, s2, v2
	s_waitcnt vmcnt(0)
	v_add_co_ci_u32_e64 v5, s0, s3, v3, s0
	s_clause 0x1
	buffer_load_dword v2, off, s[44:47], 0
	buffer_load_dword v3, off, s[44:47], 0 offset:4
	v_add_co_u32 v40, s0, v4, v0
	s_waitcnt vmcnt(0)
	v_mov_b32_e32 v3, v145
	v_add_co_ci_u32_e64 v41, s0, v5, v1, s0
	v_mov_b32_e32 v0, v2
	buffer_store_dword v0, off, s[44:47], 0 ; 4-byte Folded Spill
	buffer_store_dword v1, off, s[44:47], 0 offset:4 ; 4-byte Folded Spill
	v_lshlrev_b64 v[0:1], 4, v[2:3]
	v_add_co_u32 v2, s0, 0x2800, v40
	v_add_co_ci_u32_e64 v3, s0, 0, v41, s0
	v_add_co_u32 v42, s0, 0x2000, v40
	v_add_co_ci_u32_e64 v43, s0, 0, v41, s0
	s_clause 0x1
	global_load_dwordx4 v[24:27], v[2:3], off offset:576
	global_load_dwordx4 v[12:15], v[2:3], off offset:1408
	v_add_co_u32 v2, s0, 0x800, v40
	v_add_co_ci_u32_e64 v3, s0, 0, v41, s0
	v_add_co_u32 v0, s0, v4, v0
	v_add_co_ci_u32_e64 v1, s0, v5, v1, s0
	v_add_co_u32 v32, s0, 0x1000, v40
	v_add_co_ci_u32_e64 v33, s0, 0, v41, s0
	v_add_co_u32 v20, s0, 0x3000, v40
	v_add_co_ci_u32_e64 v21, s0, 0, v41, s0
	v_add_co_u32 v44, s0, 0x3800, v40
	v_add_co_ci_u32_e64 v45, s0, 0, v41, s0
	v_add_co_u32 v46, s0, 0x1800, v40
	v_add_co_ci_u32_e64 v47, s0, 0, v41, s0
	v_add_co_u32 v56, s0, 0x4000, v40
	v_add_co_ci_u32_e64 v57, s0, 0, v41, s0
	v_add_co_u32 v58, s0, 0x4800, v40
	v_add_co_ci_u32_e64 v59, s0, 0, v41, s0
	s_clause 0x15
	global_load_dwordx4 v[8:11], v[2:3], off offset:448
	global_load_dwordx4 v[4:7], v[2:3], off offset:1280
	global_load_dwordx4 v[16:19], v[0:1], off
	global_load_dwordx4 v[0:3], v[32:33], off offset:64
	global_load_dwordx4 v[36:39], v[20:21], off offset:192
	;; [unrolled: 1-line block ×9, first 2 shown]
	global_load_dwordx4 v[88:91], v[40:41], off
	global_load_dwordx4 v[84:87], v[40:41], off offset:832
	global_load_dwordx4 v[80:83], v[40:41], off offset:1664
	;; [unrolled: 1-line block ×9, first 2 shown]
.LBB0_11:
	s_or_b32 exec_lo, exec_lo, s1
	s_waitcnt vmcnt(13)
	v_add_f64 v[120:121], v[20:21], -v[76:77]
	s_waitcnt vmcnt(1)
	v_add_f64 v[136:137], v[44:45], -v[60:61]
	v_add_f64 v[128:129], v[52:53], -v[72:73]
	;; [unrolled: 1-line block ×9, first 2 shown]
	s_waitcnt vmcnt(0)
	v_add_f64 v[140:141], v[40:41], -v[56:57]
	v_add_f64 v[116:117], v[0:1], -v[28:29]
	;; [unrolled: 1-line block ×10, first 2 shown]
	v_add_nc_u32_e32 v167, 0x16c, v144
	v_add_nc_u32_e32 v170, 52, v144
	v_fma_f64 v[118:119], v[20:21], 2.0, -v[120:121]
	v_add_f64 v[20:21], v[82:83], -v[14:15]
	v_fma_f64 v[134:135], v[44:45], 2.0, -v[136:137]
	v_add_f64 v[44:45], v[42:43], -v[58:59]
	;; [unrolled: 2-line block ×4, first 2 shown]
	v_fma_f64 v[94:95], v[88:89], 2.0, -v[96:97]
	v_fma_f64 v[122:123], v[32:33], 2.0, -v[124:125]
	;; [unrolled: 1-line block ×14, first 2 shown]
	v_add_nc_u32_e32 v151, 0x1a0, v144
	v_fma_f64 v[18:19], v[82:83], 2.0, -v[20:21]
	v_add_nc_u32_e32 v255, 0x68, v144
	v_add_nc_u32_e32 v146, 0x1d4, v144
	;; [unrolled: 1-line block ×4, first 2 shown]
	v_fma_f64 v[74:75], v[34:35], 2.0, -v[76:77]
	v_fma_f64 v[42:43], v[42:43], 2.0, -v[44:45]
	v_add_nc_u32_e32 v166, 0xd0, v144
	v_add_nc_u32_e32 v143, 0x23c, v144
	v_fma_f64 v[54:55], v[54:55], 2.0, -v[56:57]
	v_lshl_add_u32 v142, v144, 4, 0
	v_add_nc_u32_e32 v165, 0x104, v144
	v_add_nc_u32_e32 v164, 0x138, v144
	v_lshl_add_u32 v40, v167, 4, 0
	v_lshl_add_u32 v147, v144, 3, 0
	v_fma_f64 v[50:51], v[50:51], 2.0, -v[52:53]
	v_lshl_add_u32 v8, v170, 4, 0
	v_lshl_add_u32 v41, v151, 4, 0
	v_fma_f64 v[46:47], v[46:47], 2.0, -v[48:49]
	v_lshl_add_u32 v9, v255, 4, 0
	v_lshl_add_u32 v84, v146, 4, 0
	;; [unrolled: 1-line block ×8, first 2 shown]
	ds_write_b128 v142, v[94:97]
	ds_write_b128 v8, v[98:101]
	;; [unrolled: 1-line block ×12, first 2 shown]
	v_add_nc_u32_e32 v125, 0x1800, v147
	v_add_nc_u32_e32 v127, 0x800, v147
	;; [unrolled: 1-line block ×6, first 2 shown]
	s_waitcnt lgkmcnt(0)
	s_waitcnt_vscnt null, 0x0
	s_barrier
	buffer_gl0_inv
	ds_read2_b64 v[100:103], v147 offset1:52
	ds_read2_b64 v[64:67], v124 offset0:112 offset1:164
	ds_read2_b64 v[104:107], v147 offset0:104 offset1:156
	;; [unrolled: 1-line block ×11, first 2 shown]
	s_waitcnt lgkmcnt(0)
	s_barrier
	buffer_gl0_inv
	ds_write_b128 v142, v[90:93]
	ds_write_b128 v8, v[14:17]
	;; [unrolled: 1-line block ×7, first 2 shown]
	v_and_b32_e32 v58, 1, v144
	ds_write_b128 v40, v[74:77]
	ds_write_b128 v41, v[54:57]
	;; [unrolled: 1-line block ×5, first 2 shown]
	s_waitcnt lgkmcnt(0)
	s_barrier
	v_lshlrev_b32_e32 v8, 4, v58
	buffer_gl0_inv
	v_lshlrev_b32_e32 v44, 1, v163
	v_lshlrev_b32_e32 v45, 1, v166
	;; [unrolled: 1-line block ×3, first 2 shown]
	global_load_dwordx4 v[72:75], v8, s[8:9]
	ds_read2_b64 v[76:79], v124 offset0:112 offset1:164
	ds_read2_b64 v[80:83], v62 offset0:88 offset1:140
	;; [unrolled: 1-line block ×6, first 2 shown]
	v_lshlrev_b32_e32 v47, 1, v164
	v_lshlrev_b32_e32 v152, 1, v144
	;; [unrolled: 1-line block ×7, first 2 shown]
	v_and_or_b32 v56, 0x1fc, v44, v58
	v_and_or_b32 v57, 0x3fc, v45, v58
	;; [unrolled: 1-line block ×5, first 2 shown]
	v_lshlrev_b32_e32 v41, 1, v255
	v_and_or_b32 v61, 0x3fc, v48, v58
	v_and_or_b32 v62, 0x3fc, v49, v58
	;; [unrolled: 1-line block ×5, first 2 shown]
	v_lshl_add_u32 v129, v40, 3, 0
	v_and_or_b32 v55, 0x1fc, v41, v58
	v_lshlrev_b32_e32 v150, 1, v170
	v_lshl_add_u32 v132, v56, 3, 0
	v_lshl_add_u32 v133, v57, 3, 0
	;; [unrolled: 1-line block ×4, first 2 shown]
	v_and_or_b32 v54, 0xfc, v150, v58
	v_lshl_add_u32 v135, v60, 3, 0
	v_lshl_add_u32 v136, v61, 3, 0
	;; [unrolled: 1-line block ×5, first 2 shown]
	buffer_store_dword v146, off, s[44:47], 0 offset:24 ; 4-byte Folded Spill
	buffer_store_dword v145, off, s[44:47], 0 offset:20 ; 4-byte Folded Spill
	;; [unrolled: 1-line block ×3, first 2 shown]
	v_add_nc_u32_e32 v128, 0x1c00, v147
	v_lshl_add_u32 v139, v139, 3, 0
	v_lshl_add_u32 v140, v140, 3, 0
	v_cmp_gt_u32_e64 s0, 44, v144
                                        ; implicit-def: $vgpr153_vgpr154
	s_waitcnt vmcnt(0) lgkmcnt(5)
	v_mul_f64 v[8:9], v[76:77], v[74:75]
	v_mul_f64 v[10:11], v[78:79], v[74:75]
	s_waitcnt lgkmcnt(4)
	v_mul_f64 v[12:13], v[80:81], v[74:75]
	v_mul_f64 v[14:15], v[82:83], v[74:75]
	s_waitcnt lgkmcnt(3)
	;; [unrolled: 3-line block ×5, first 2 shown]
	v_mul_f64 v[36:37], v[92:93], v[74:75]
	v_mul_f64 v[38:39], v[94:95], v[74:75]
	v_fma_f64 v[8:9], v[64:65], v[72:73], -v[8:9]
	v_fma_f64 v[10:11], v[66:67], v[72:73], -v[10:11]
	;; [unrolled: 1-line block ×12, first 2 shown]
	v_add_f64 v[44:45], v[100:101], -v[8:9]
	v_add_f64 v[46:47], v[102:103], -v[10:11]
	;; [unrolled: 1-line block ×12, first 2 shown]
	v_fma_f64 v[20:21], v[100:101], 2.0, -v[44:45]
	v_fma_f64 v[22:23], v[102:103], 2.0, -v[46:47]
	v_fma_f64 v[54:55], v[104:105], 2.0, -v[48:49]
	v_fma_f64 v[56:57], v[106:107], 2.0, -v[50:51]
	v_fma_f64 v[58:59], v[108:109], 2.0, -v[52:53]
	v_fma_f64 v[60:61], v[110:111], 2.0, -v[18:19]
	v_fma_f64 v[62:63], v[112:113], 2.0, -v[8:9]
	v_fma_f64 v[10:11], v[114:115], 2.0, -v[40:41]
	v_fma_f64 v[42:43], v[116:117], 2.0, -v[36:37]
	v_fma_f64 v[38:39], v[118:119], 2.0, -v[24:25]
	v_fma_f64 v[26:27], v[120:121], 2.0, -v[12:13]
	v_fma_f64 v[14:15], v[122:123], 2.0, -v[16:17]
	ds_read2_b64 v[120:123], v147 offset1:52
	ds_read2_b64 v[116:119], v147 offset0:104 offset1:156
	ds_read2_b64 v[112:115], v126 offset0:80 offset1:132
	;; [unrolled: 1-line block ×5, first 2 shown]
	s_waitcnt lgkmcnt(0)
	s_waitcnt_vscnt null, 0x0
	s_barrier
	buffer_gl0_inv
	ds_write2_b64 v129, v[20:21], v[44:45] offset1:2
	ds_write2_b64 v130, v[22:23], v[46:47] offset1:2
	;; [unrolled: 1-line block ×12, first 2 shown]
	s_waitcnt lgkmcnt(0)
	s_barrier
	buffer_gl0_inv
	ds_read_b64 v[157:158], v147 offset:9216
	ds_read2_b64 v[20:23], v147 offset1:96
	ds_read2_b64 v[60:63], v126 offset0:64 offset1:160
	ds_read2_b64 v[56:59], v127 offset0:128 offset1:224
	;; [unrolled: 1-line block ×3, first 2 shown]
	ds_read2_b64 v[44:47], v125 offset1:96
	ds_read2_b64 v[48:51], v128 offset0:64 offset1:160
	s_and_saveexec_b32 s1, s0
	s_cbranch_execz .LBB0_13
; %bb.12:
	v_add_nc_u32_e32 v16, 0xc00, v147
	ds_read2_b64 v[8:11], v147 offset0:52 offset1:148
	ds_read2_b64 v[40:43], v126 offset0:116 offset1:212
	;; [unrolled: 1-line block ×6, first 2 shown]
	ds_read_b64 v[153:154], v147 offset:9632
.LBB0_13:
	s_or_b32 exec_lo, exec_lo, s1
	v_mul_f64 v[64:65], v[64:65], v[74:75]
	v_mul_f64 v[66:67], v[66:67], v[74:75]
	;; [unrolled: 1-line block ×12, first 2 shown]
	s_waitcnt lgkmcnt(0)
	s_barrier
	buffer_gl0_inv
                                        ; implicit-def: $vgpr155_vgpr156
	v_fma_f64 v[64:65], v[76:77], v[72:73], v[64:65]
	v_fma_f64 v[66:67], v[78:79], v[72:73], v[66:67]
	;; [unrolled: 1-line block ×12, first 2 shown]
	v_add_f64 v[72:73], v[120:121], -v[64:65]
	v_add_f64 v[80:81], v[122:123], -v[66:67]
	;; [unrolled: 1-line block ×12, first 2 shown]
	v_fma_f64 v[74:75], v[120:121], 2.0, -v[72:73]
	v_fma_f64 v[84:85], v[122:123], 2.0, -v[80:81]
	;; [unrolled: 1-line block ×12, first 2 shown]
	ds_write2_b64 v129, v[74:75], v[72:73] offset1:2
	ds_write2_b64 v130, v[84:85], v[80:81] offset1:2
	;; [unrolled: 1-line block ×12, first 2 shown]
	s_waitcnt lgkmcnt(0)
	s_barrier
	buffer_gl0_inv
	ds_read2_b64 v[4:7], v147 offset1:96
	ds_read2_b64 v[112:115], v126 offset0:64 offset1:160
	ds_read2_b64 v[104:107], v127 offset0:128 offset1:224
	ds_read2_b64 v[80:83], v124 offset0:64 offset1:160
	ds_read2_b64 v[84:87], v125 offset1:96
	ds_read2_b64 v[108:111], v128 offset0:64 offset1:160
	ds_read_b64 v[159:160], v147 offset:9216
	s_and_saveexec_b32 s1, s0
	s_cbranch_execz .LBB0_15
; %bb.14:
	v_add_nc_u32_e32 v28, 0x400, v147
	v_add_nc_u32_e32 v29, 0xc00, v147
	;; [unrolled: 1-line block ×5, first 2 shown]
	ds_read2_b64 v[0:3], v147 offset0:52 offset1:148
	ds_read2_b64 v[76:79], v28 offset0:116 offset1:212
	;; [unrolled: 1-line block ×6, first 2 shown]
	ds_read_b64 v[155:156], v147 offset:9632
.LBB0_15:
	s_or_b32 exec_lo, exec_lo, s1
	v_and_b32_e32 v145, 3, v144
	s_mov_b32 s20, 0x4267c47c
	s_mov_b32 s18, 0x42a4c3d2
	;; [unrolled: 1-line block ×4, first 2 shown]
	v_mul_u32_u24_e32 v72, 12, v145
	s_mov_b32 s19, 0xbfea55e2
	s_mov_b32 s23, 0xbfefc445
	s_mov_b32 s24, 0x2ef20147
	s_mov_b32 s26, 0x24c2f84
	v_lshlrev_b32_e32 v88, 4, v72
	s_mov_b32 s25, 0xbfedeba7
	s_mov_b32 s27, 0xbfe5384d
	;; [unrolled: 1-line block ×4, first 2 shown]
	s_clause 0xb
	global_load_dwordx4 v[124:127], v88, s[8:9] offset:48
	global_load_dwordx4 v[120:123], v88, s[8:9] offset:64
	;; [unrolled: 1-line block ×12, first 2 shown]
	s_mov_b32 s4, 0xe00740e9
	s_mov_b32 s6, 0x1ea71119
	;; [unrolled: 1-line block ×24, first 2 shown]
	v_lshrrev_b32_e32 v146, 2, v144
	s_waitcnt vmcnt(0) lgkmcnt(0)
	s_barrier
	buffer_gl0_inv
	v_mul_f64 v[171:172], v[112:113], v[126:127]
	v_mul_f64 v[173:174], v[114:115], v[122:123]
	;; [unrolled: 1-line block ×22, first 2 shown]
	v_fma_f64 v[126:127], v[60:61], v[124:125], -v[171:172]
	v_mul_f64 v[233:234], v[70:71], v[130:131]
	v_mul_f64 v[235:236], v[38:39], v[130:131]
	;; [unrolled: 1-line block ×4, first 2 shown]
	v_fma_f64 v[134:135], v[22:23], v[132:133], -v[122:123]
	v_fma_f64 v[122:123], v[62:63], v[120:121], -v[173:174]
	;; [unrolled: 1-line block ×3, first 2 shown]
	v_fma_f64 v[60:61], v[78:79], v[120:121], v[185:186]
	v_fma_f64 v[130:131], v[112:113], v[124:125], v[175:176]
	;; [unrolled: 1-line block ×3, first 2 shown]
	v_mul_f64 v[199:200], v[80:81], v[142:143]
	v_mul_f64 v[203:204], v[52:53], v[142:143]
	v_fma_f64 v[120:121], v[46:47], v[96:97], -v[211:212]
	v_fma_f64 v[46:47], v[84:85], v[100:101], v[209:210]
	v_fma_f64 v[84:85], v[2:3], v[132:133], v[227:228]
	v_mul_f64 v[223:224], v[159:160], v[74:75]
	v_mul_f64 v[237:238], v[64:65], v[142:143]
	;; [unrolled: 1-line block ×3, first 2 shown]
	v_fma_f64 v[22:23], v[159:160], v[72:73], v[197:198]
	v_fma_f64 v[142:143], v[6:7], v[132:133], v[195:196]
	v_mul_f64 v[191:192], v[56:57], v[118:119]
	v_mul_f64 v[229:230], v[68:69], v[118:119]
	;; [unrolled: 1-line block ×3, first 2 shown]
	v_fma_f64 v[118:119], v[56:57], v[116:117], -v[187:188]
	v_mul_f64 v[205:206], v[54:55], v[138:139]
	v_mul_f64 v[215:216], v[108:109], v[94:95]
	v_add_f64 v[62:63], v[20:21], v[134:135]
	v_mul_f64 v[219:220], v[48:49], v[94:95]
	v_mul_f64 v[241:242], v[66:67], v[138:139]
	;; [unrolled: 1-line block ×4, first 2 shown]
	v_fma_f64 v[94:95], v[40:41], v[124:125], -v[179:180]
	v_fma_f64 v[40:41], v[110:111], v[88:89], v[217:218]
	v_fma_f64 v[114:115], v[58:59], v[128:129], -v[189:190]
	v_mul_f64 v[201:202], v[82:83], v[138:139]
	v_mul_f64 v[243:244], v[26:27], v[138:139]
	;; [unrolled: 1-line block ×3, first 2 shown]
	v_fma_f64 v[157:158], v[157:158], v[72:73], -v[223:224]
	v_mul_f64 v[247:248], v[12:13], v[102:103]
	v_mul_f64 v[249:250], v[34:35], v[98:99]
	;; [unrolled: 1-line block ×3, first 2 shown]
	v_add_f64 v[58:59], v[142:143], -v[22:23]
	v_fma_f64 v[98:99], v[76:77], v[124:125], v[181:182]
	v_fma_f64 v[110:111], v[104:105], v[116:117], v[191:192]
	;; [unrolled: 1-line block ×3, first 2 shown]
	v_fma_f64 v[138:139], v[50:51], v[88:89], -v[221:222]
	v_fma_f64 v[102:103], v[82:83], v[136:137], v[205:206]
	v_fma_f64 v[124:125], v[48:49], v[92:93], -v[215:216]
	v_add_f64 v[2:3], v[62:63], v[126:127]
	v_fma_f64 v[42:43], v[108:109], v[92:93], v[219:220]
	v_fma_f64 v[48:49], v[86:87], v[96:97], v[213:214]
	v_fma_f64 v[82:83], v[10:11], v[132:133], -v[225:226]
	v_fma_f64 v[78:79], v[36:37], v[116:117], -v[229:230]
	v_fma_f64 v[56:57], v[68:69], v[116:117], v[231:232]
	v_add_f64 v[10:11], v[130:131], -v[40:41]
	v_fma_f64 v[68:69], v[26:27], v[136:137], -v[241:242]
	v_fma_f64 v[106:107], v[106:107], v[128:129], v[193:194]
	v_fma_f64 v[108:109], v[54:55], v[136:137], -v[201:202]
	v_fma_f64 v[76:77], v[38:39], v[128:129], -v[233:234]
	v_add_f64 v[26:27], v[134:135], v[157:158]
	v_fma_f64 v[54:55], v[70:71], v[128:129], v[235:236]
	v_fma_f64 v[6:7], v[52:53], v[140:141], -v[199:200]
	v_fma_f64 v[62:63], v[24:25], v[140:141], -v[237:238]
	v_mul_f64 v[80:81], v[58:59], s[20:21]
	v_mul_f64 v[86:87], v[58:59], s[18:19]
	v_mul_f64 v[116:117], v[58:59], s[22:23]
	v_mul_f64 v[128:129], v[58:59], s[24:25]
	v_mul_f64 v[132:133], v[58:59], s[26:27]
	v_mul_f64 v[58:59], v[58:59], s[28:29]
	v_fma_f64 v[52:53], v[64:65], v[140:141], v[239:240]
	v_add_f64 v[2:3], v[2:3], v[122:123]
	v_add_f64 v[24:25], v[112:113], -v[42:43]
	v_fma_f64 v[50:51], v[66:67], v[136:137], v[243:244]
	v_add_f64 v[36:37], v[126:127], v[138:139]
	v_fma_f64 v[44:45], v[44:45], v[100:101], -v[207:208]
	v_add_f64 v[38:39], v[122:123], v[124:125]
	v_mul_f64 v[136:137], v[10:11], s[18:19]
	v_mul_f64 v[140:141], v[10:11], s[24:25]
	;; [unrolled: 1-line block ×6, first 2 shown]
	v_add_f64 v[64:65], v[110:111], -v[48:49]
	v_add_f64 v[66:67], v[118:119], v[120:121]
	v_add_f64 v[70:71], v[106:107], -v[46:47]
	v_fma_f64 v[195:196], v[26:27], s[4:5], -v[80:81]
	v_fma_f64 v[197:198], v[26:27], s[6:7], -v[86:87]
	v_fma_f64 v[86:87], v[26:27], s[6:7], v[86:87]
	v_fma_f64 v[199:200], v[26:27], s[10:11], -v[116:117]
	v_fma_f64 v[201:202], v[26:27], s[12:13], -v[128:129]
	v_fma_f64 v[128:129], v[26:27], s[12:13], v[128:129]
	v_fma_f64 v[203:204], v[26:27], s[14:15], -v[132:133]
	v_add_f64 v[2:3], v[2:3], v[118:119]
	v_fma_f64 v[80:81], v[26:27], s[4:5], v[80:81]
	v_fma_f64 v[116:117], v[26:27], s[10:11], v[116:117]
	;; [unrolled: 1-line block ×3, first 2 shown]
	v_fma_f64 v[205:206], v[26:27], s[16:17], -v[58:59]
	v_fma_f64 v[26:27], v[26:27], s[16:17], v[58:59]
	v_mul_f64 v[175:176], v[24:25], s[22:23]
	v_mul_f64 v[177:178], v[24:25], s[28:29]
	;; [unrolled: 1-line block ×3, first 2 shown]
	v_fma_f64 v[58:59], v[36:37], s[6:7], -v[136:137]
	v_fma_f64 v[207:208], v[36:37], s[12:13], -v[140:141]
	v_fma_f64 v[140:141], v[36:37], s[12:13], v[140:141]
	v_fma_f64 v[209:210], v[36:37], s[16:17], -v[159:160]
	v_mul_f64 v[181:182], v[24:25], s[36:37]
	v_mul_f64 v[183:184], v[24:25], s[18:19]
	v_add_f64 v[195:196], v[20:21], v[195:196]
	v_add_f64 v[197:198], v[20:21], v[197:198]
	;; [unrolled: 1-line block ×4, first 2 shown]
	v_fma_f64 v[211:212], v[36:37], s[14:15], -v[171:172]
	v_fma_f64 v[171:172], v[36:37], s[14:15], v[171:172]
	v_fma_f64 v[213:214], v[36:37], s[10:11], -v[173:174]
	v_add_f64 v[2:3], v[2:3], v[114:115]
	v_add_f64 v[201:202], v[20:21], v[201:202]
	;; [unrolled: 1-line block ×4, first 2 shown]
	v_mul_f64 v[24:25], v[24:25], s[26:27]
	v_fma_f64 v[215:216], v[36:37], s[4:5], -v[10:11]
	v_fma_f64 v[10:11], v[36:37], s[4:5], v[10:11]
	v_add_f64 v[233:234], v[20:21], v[80:81]
	v_add_f64 v[116:117], v[20:21], v[116:117]
	;; [unrolled: 1-line block ×5, first 2 shown]
	v_fma_f64 v[173:174], v[36:37], s[10:11], v[173:174]
	v_fma_f64 v[159:160], v[36:37], s[16:17], v[159:160]
	;; [unrolled: 1-line block ×3, first 2 shown]
	v_mul_f64 v[185:186], v[64:65], s[24:25]
	v_mul_f64 v[187:188], v[64:65], s[34:35]
	;; [unrolled: 1-line block ×6, first 2 shown]
	v_fma_f64 v[36:37], v[38:39], s[10:11], -v[175:176]
	v_add_f64 v[2:3], v[2:3], v[6:7]
	v_fma_f64 v[217:218], v[38:39], s[16:17], -v[177:178]
	v_fma_f64 v[219:220], v[38:39], s[12:13], -v[179:180]
	v_add_f64 v[58:59], v[58:59], v[195:196]
	v_add_f64 v[197:198], v[207:208], v[197:198]
	v_fma_f64 v[80:81], v[12:13], v[100:101], -v[245:246]
	v_add_f64 v[12:13], v[140:141], v[86:87]
	v_add_f64 v[86:87], v[209:210], v[199:200]
	v_fma_f64 v[177:178], v[38:39], s[16:17], v[177:178]
	v_fma_f64 v[221:222], v[38:39], s[4:5], -v[181:182]
	v_fma_f64 v[181:182], v[38:39], s[4:5], v[181:182]
	v_fma_f64 v[223:224], v[38:39], s[6:7], -v[183:184]
	v_add_f64 v[199:200], v[211:212], v[201:202]
	v_add_f64 v[128:129], v[171:172], v[128:129]
	;; [unrolled: 1-line block ×3, first 2 shown]
	v_fma_f64 v[225:226], v[38:39], s[14:15], -v[24:25]
	v_fma_f64 v[24:25], v[38:39], s[14:15], v[24:25]
	v_add_f64 v[205:206], v[215:216], v[205:206]
	v_add_f64 v[10:11], v[10:11], v[20:21]
	v_fma_f64 v[183:184], v[38:39], s[6:7], v[183:184]
	v_add_f64 v[132:133], v[173:174], v[132:133]
	v_fma_f64 v[179:180], v[38:39], s[12:13], v[179:180]
	v_add_f64 v[2:3], v[2:3], v[108:109]
	v_add_f64 v[116:117], v[159:160], v[116:117]
	v_fma_f64 v[175:176], v[38:39], s[10:11], v[175:176]
	v_add_f64 v[136:137], v[136:137], v[233:234]
	v_fma_f64 v[38:39], v[66:67], s[12:13], -v[185:186]
	v_fma_f64 v[185:186], v[66:67], s[12:13], v[185:186]
	v_fma_f64 v[227:228], v[66:67], s[14:15], -v[187:188]
	v_fma_f64 v[187:188], v[66:67], s[14:15], v[187:188]
	;; [unrolled: 2-line block ×6, first 2 shown]
	v_add_f64 v[66:67], v[104:105], -v[102:103]
	v_mul_f64 v[195:196], v[155:156], v[74:75]
	v_mul_f64 v[207:208], v[153:154], v[74:75]
	v_add_f64 v[74:75], v[114:115], v[44:45]
	v_mul_f64 v[159:160], v[70:71], s[26:27]
	v_mul_f64 v[201:202], v[70:71], s[30:31]
	v_add_f64 v[2:3], v[2:3], v[44:45]
	v_mul_f64 v[171:172], v[70:71], s[18:19]
	v_mul_f64 v[209:210], v[70:71], s[42:43]
	;; [unrolled: 1-line block ×4, first 2 shown]
	v_add_f64 v[36:37], v[36:37], v[58:59]
	v_add_f64 v[197:198], v[217:218], v[197:198]
	;; [unrolled: 1-line block ×13, first 2 shown]
	v_mul_f64 v[211:212], v[66:67], s[28:29]
	v_mul_f64 v[20:21], v[66:67], s[36:37]
	;; [unrolled: 1-line block ×3, first 2 shown]
	v_fma_f64 v[177:178], v[74:75], s[14:15], -v[159:160]
	v_add_f64 v[2:3], v[2:3], v[120:121]
	v_fma_f64 v[159:160], v[74:75], s[14:15], v[159:160]
	v_fma_f64 v[217:218], v[74:75], s[10:11], -v[201:202]
	v_fma_f64 v[201:202], v[74:75], s[10:11], v[201:202]
	v_fma_f64 v[219:220], v[74:75], s[6:7], -v[171:172]
	;; [unrolled: 2-line block ×5, first 2 shown]
	v_fma_f64 v[70:71], v[74:75], s[12:13], v[70:71]
	v_add_f64 v[36:37], v[38:39], v[36:37]
	v_add_f64 v[38:39], v[227:228], v[197:198]
	;; [unrolled: 1-line block ×3, first 2 shown]
	v_mul_f64 v[58:59], v[66:67], s[40:41]
	v_mul_f64 v[215:216], v[66:67], s[24:25]
	v_add_f64 v[12:13], v[187:188], v[12:13]
	v_add_f64 v[86:87], v[231:232], v[199:200]
	;; [unrolled: 1-line block ×3, first 2 shown]
	v_mul_f64 v[66:67], v[66:67], s[30:31]
	v_add_f64 v[128:129], v[191:192], v[128:129]
	v_add_f64 v[181:182], v[235:236], v[203:204]
	;; [unrolled: 1-line block ×7, first 2 shown]
	v_fma_f64 v[205:206], v[140:141], s[16:17], -v[211:212]
	v_fma_f64 v[209:210], v[140:141], s[16:17], v[211:212]
	v_fma_f64 v[211:212], v[140:141], s[4:5], -v[20:21]
	v_fma_f64 v[132:133], v[140:141], s[14:15], -v[213:214]
	v_fma_f64 v[20:21], v[140:141], s[4:5], v[20:21]
	v_fma_f64 v[185:186], v[140:141], s[14:15], v[213:214]
	v_add_f64 v[36:37], v[177:178], v[36:37]
	v_add_f64 v[38:39], v[217:218], v[38:39]
	;; [unrolled: 1-line block ×3, first 2 shown]
	v_fma_f64 v[187:188], v[140:141], s[6:7], -v[58:59]
	v_fma_f64 v[191:192], v[140:141], s[12:13], -v[215:216]
	v_add_f64 v[12:13], v[201:202], v[12:13]
	v_add_f64 v[136:137], v[136:137], v[86:87]
	;; [unrolled: 1-line block ×3, first 2 shown]
	v_fma_f64 v[189:190], v[140:141], s[6:7], v[58:59]
	v_fma_f64 v[193:194], v[140:141], s[12:13], v[215:216]
	v_fma_f64 v[197:198], v[140:141], s[10:11], -v[66:67]
	v_fma_f64 v[140:141], v[140:141], s[10:11], v[66:67]
	v_add_f64 v[128:129], v[175:176], v[128:129]
	v_add_f64 v[175:176], v[183:184], v[181:182]
	;; [unrolled: 1-line block ×7, first 2 shown]
	v_fma_f64 v[74:75], v[32:33], v[100:101], v[247:248]
	v_fma_f64 v[86:87], v[14:15], v[96:97], -v[249:250]
	v_fma_f64 v[70:71], v[34:35], v[96:97], v[251:252]
	v_fma_f64 v[96:97], v[16:17], v[92:93], -v[253:254]
	;; [unrolled: 2-line block ×4, first 2 shown]
	v_fma_f64 v[58:59], v[155:156], v[72:73], v[207:208]
	v_add_f64 v[16:17], v[211:212], v[38:39]
	v_add_f64 v[18:19], v[132:133], v[177:178]
	;; [unrolled: 1-line block ×13, first 2 shown]
	v_mul_u32_u24_e32 v36, 52, v146
	v_lshrrev_b32_e32 v72, 2, v170
	v_or_b32_e32 v36, v36, v145
	v_lshl_add_u32 v73, v36, 3, 0
	ds_write2_b64 v73, v[16:17], v[18:19] offset0:8 offset1:12
	ds_write2_b64 v73, v[20:21], v[26:27] offset0:16 offset1:20
	;; [unrolled: 1-line block ×5, first 2 shown]
	ds_write2_b64 v73, v[2:3], v[14:15] offset1:4
	ds_write_b64 v73, v[34:35] offset:384
	s_and_saveexec_b32 s1, s0
	s_cbranch_execz .LBB0_17
; %bb.16:
	v_add_f64 v[2:3], v[8:9], v[82:83]
	v_add_f64 v[20:21], v[84:85], -v[58:59]
	v_add_f64 v[18:19], v[98:99], -v[64:65]
	v_add_f64 v[34:35], v[82:83], v[88:89]
	v_add_f64 v[16:17], v[60:61], -v[66:67]
	v_add_f64 v[32:33], v[94:95], v[92:93]
	;; [unrolled: 2-line block ×5, first 2 shown]
	v_add_f64 v[24:25], v[62:63], v[68:69]
	v_add_f64 v[2:3], v[2:3], v[94:95]
	v_mul_f64 v[132:133], v[20:21], s[28:29]
	v_mul_f64 v[159:160], v[20:21], s[26:27]
	;; [unrolled: 1-line block ×21, first 2 shown]
	v_add_f64 v[2:3], v[2:3], v[90:91]
	v_fma_f64 v[212:213], v[34:35], s[16:17], v[132:133]
	v_fma_f64 v[132:133], v[34:35], s[16:17], -v[132:133]
	v_fma_f64 v[224:225], v[34:35], s[14:15], v[159:160]
	v_fma_f64 v[159:160], v[34:35], s[14:15], -v[159:160]
	;; [unrolled: 2-line block ×3, first 2 shown]
	v_fma_f64 v[230:231], v[34:35], s[6:7], -v[200:201]
	v_fma_f64 v[176:177], v[34:35], s[12:13], -v[176:177]
	v_fma_f64 v[188:189], v[34:35], s[10:11], v[188:189]
	v_fma_f64 v[200:201], v[34:35], s[6:7], v[200:201]
	v_fma_f64 v[232:233], v[34:35], s[4:5], -v[20:21]
	v_fma_f64 v[20:21], v[34:35], s[4:5], v[20:21]
	v_fma_f64 v[210:211], v[32:33], s[4:5], v[128:129]
	v_fma_f64 v[128:129], v[32:33], s[4:5], -v[128:129]
	v_fma_f64 v[222:223], v[32:33], s[10:11], v[155:156]
	v_fma_f64 v[34:35], v[32:33], s[10:11], -v[155:156]
	;; [unrolled: 2-line block ×4, first 2 shown]
	v_fma_f64 v[236:237], v[32:33], s[12:13], v[198:199]
	v_add_f64 v[2:3], v[2:3], v[78:79]
	v_fma_f64 v[198:199], v[32:33], s[12:13], -v[198:199]
	v_fma_f64 v[238:239], v[32:33], s[6:7], v[18:19]
	v_fma_f64 v[18:19], v[32:33], s[6:7], -v[18:19]
	v_add_f64 v[32:33], v[8:9], v[212:213]
	v_add_f64 v[132:133], v[8:9], v[132:133]
	;; [unrolled: 1-line block ×12, first 2 shown]
	v_mul_f64 v[182:183], v[14:15], s[36:37]
	v_mul_f64 v[194:195], v[14:15], s[34:35]
	v_mul_f64 v[14:15], v[14:15], s[24:25]
	v_fma_f64 v[208:209], v[30:31], s[14:15], v[116:117]
	v_fma_f64 v[116:117], v[30:31], s[14:15], -v[116:117]
	v_fma_f64 v[220:221], v[30:31], s[6:7], v[153:154]
	v_add_f64 v[2:3], v[2:3], v[76:77]
	v_fma_f64 v[20:21], v[30:31], s[6:7], -v[153:154]
	v_fma_f64 v[153:154], v[30:31], s[4:5], v[172:173]
	v_fma_f64 v[172:173], v[30:31], s[4:5], -v[172:173]
	v_fma_f64 v[232:233], v[30:31], s[12:13], v[184:185]
	;; [unrolled: 2-line block ×4, first 2 shown]
	v_fma_f64 v[16:17], v[30:31], s[10:11], -v[16:17]
	v_add_f64 v[30:31], v[210:211], v[32:33]
	v_add_f64 v[32:33], v[128:129], v[132:133]
	;; [unrolled: 1-line block ×13, first 2 shown]
	v_mul_f64 v[38:39], v[12:13], s[24:25]
	v_mul_f64 v[140:141], v[12:13], s[36:37]
	;; [unrolled: 1-line block ×6, first 2 shown]
	v_fma_f64 v[206:207], v[28:29], s[6:7], v[100:101]
	v_fma_f64 v[100:101], v[28:29], s[6:7], -v[100:101]
	v_fma_f64 v[218:219], v[28:29], s[16:17], v[148:149]
	v_fma_f64 v[148:149], v[28:29], s[16:17], -v[148:149]
	;; [unrolled: 2-line block ×6, first 2 shown]
	v_add_f64 v[28:29], v[208:209], v[30:31]
	v_add_f64 v[30:31], v[116:117], v[32:33]
	;; [unrolled: 1-line block ×13, first 2 shown]
	v_mul_f64 v[36:37], v[10:11], s[30:31]
	v_mul_f64 v[136:137], v[10:11], s[24:25]
	v_mul_f64 v[161:162], v[10:11], s[40:41]
	v_mul_f64 v[178:179], v[10:11], s[26:27]
	v_mul_f64 v[190:191], v[10:11], s[36:37]
	v_mul_f64 v[10:11], v[10:11], s[28:29]
	v_fma_f64 v[204:205], v[26:27], s[12:13], v[38:39]
	v_fma_f64 v[38:39], v[26:27], s[12:13], -v[38:39]
	v_fma_f64 v[216:217], v[26:27], s[4:5], v[140:141]
	v_fma_f64 v[18:19], v[26:27], s[4:5], -v[140:141]
	;; [unrolled: 2-line block ×3, first 2 shown]
	v_add_f64 v[2:3], v[2:3], v[80:81]
	v_fma_f64 v[168:169], v[26:27], s[6:7], v[180:181]
	v_fma_f64 v[172:173], v[26:27], s[6:7], -v[180:181]
	v_fma_f64 v[174:175], v[26:27], s[10:11], v[192:193]
	v_fma_f64 v[176:177], v[26:27], s[10:11], -v[192:193]
	;; [unrolled: 2-line block ×3, first 2 shown]
	v_add_f64 v[26:27], v[206:207], v[28:29]
	v_add_f64 v[28:29], v[100:101], v[30:31]
	;; [unrolled: 1-line block ×12, first 2 shown]
	v_fma_f64 v[202:203], v[24:25], s[10:11], v[36:37]
	v_fma_f64 v[36:37], v[24:25], s[10:11], -v[36:37]
	v_fma_f64 v[214:215], v[24:25], s[12:13], v[136:137]
	v_add_f64 v[2:3], v[2:3], v[86:87]
	v_fma_f64 v[16:17], v[24:25], s[12:13], -v[136:137]
	v_fma_f64 v[136:137], v[24:25], s[6:7], v[161:162]
	v_fma_f64 v[148:149], v[24:25], s[6:7], -v[161:162]
	v_fma_f64 v[153:154], v[24:25], s[14:15], v[178:179]
	v_fma_f64 v[155:156], v[24:25], s[14:15], -v[178:179]
	v_fma_f64 v[161:162], v[24:25], s[4:5], v[190:191]
	v_fma_f64 v[170:171], v[24:25], s[4:5], -v[190:191]
	v_fma_f64 v[178:179], v[24:25], s[16:17], v[10:11]
	v_fma_f64 v[10:11], v[24:25], s[16:17], -v[10:11]
	v_add_f64 v[24:25], v[204:205], v[26:27]
	v_add_f64 v[26:27], v[38:39], v[28:29]
	v_add_f64 v[28:29], v[216:217], v[30:31]
	v_add_f64 v[18:19], v[18:19], v[20:21]
	v_add_f64 v[20:21], v[140:141], v[32:33]
	v_add_f64 v[30:31], v[172:173], v[34:35]
	v_add_f64 v[32:33], v[176:177], v[100:101]
	v_add_f64 v[34:35], v[159:160], v[116:117]
	v_add_f64 v[38:39], v[168:169], v[128:129]
	v_add_f64 v[100:101], v[174:175], v[132:133]
	v_add_f64 v[12:13], v[12:13], v[14:15]
	v_add_f64 v[8:9], v[180:181], v[8:9]
	v_add_f64 v[2:3], v[2:3], v[96:97]
	v_add_f64 v[14:15], v[202:203], v[24:25]
	v_add_f64 v[24:25], v[36:37], v[26:27]
	v_add_f64 v[26:27], v[214:215], v[28:29]
	v_add_f64 v[16:17], v[16:17], v[18:19]
	v_add_f64 v[18:19], v[136:137], v[20:21]
	v_add_f64 v[20:21], v[155:156], v[30:31]
	v_add_f64 v[28:29], v[170:171], v[32:33]
	v_add_f64 v[30:31], v[148:149], v[34:35]
	v_add_f64 v[32:33], v[153:154], v[38:39]
	v_add_f64 v[34:35], v[161:162], v[100:101]
	v_add_f64 v[10:11], v[10:11], v[12:13]
	v_add_f64 v[8:9], v[178:179], v[8:9]
	v_add_f64 v[2:3], v[2:3], v[92:93]
	v_mul_u32_u24_e32 v12, 52, v72
	v_or_b32_e32 v12, v12, v145
	v_lshl_add_u32 v12, v12, 3, 0
	v_add_f64 v[2:3], v[2:3], v[88:89]
	ds_write2_b64 v12, v[28:29], v[20:21] offset0:8 offset1:12
	ds_write2_b64 v12, v[30:31], v[16:17] offset0:16 offset1:20
	;; [unrolled: 1-line block ×5, first 2 shown]
	ds_write2_b64 v12, v[2:3], v[10:11] offset1:4
	ds_write_b64 v12, v[8:9] offset:384
.LBB0_17:
	s_or_b32 exec_lo, exec_lo, s1
	v_add_f64 v[2:3], v[4:5], v[142:143]
	v_add_f64 v[14:15], v[134:135], -v[157:158]
	v_add_f64 v[16:17], v[142:143], v[22:23]
	v_add_f64 v[20:21], v[126:127], -v[138:139]
	;; [unrolled: 2-line block ×3, first 2 shown]
	v_add_f64 v[34:35], v[114:115], -v[44:45]
	v_add_f64 v[30:31], v[118:119], -v[120:121]
	v_add_f64 v[18:19], v[130:131], v[40:41]
	v_add_f64 v[32:33], v[106:107], v[46:47]
	;; [unrolled: 1-line block ×4, first 2 shown]
	v_add_f64 v[38:39], v[6:7], -v[108:109]
	v_add_nc_u32_e32 v100, 0x1000, v147
	v_add_nc_u32_e32 v101, 0x1400, v147
	;; [unrolled: 1-line block ×4, first 2 shown]
	s_waitcnt lgkmcnt(0)
	s_barrier
	buffer_gl0_inv
	ds_read2_b64 v[6:9], v147 offset1:52
	ds_read2_b64 v[10:13], v147 offset0:104 offset1:156
	v_add_f64 v[2:3], v[2:3], v[130:131]
	v_mul_f64 v[44:45], v[14:15], s[20:21]
	v_mul_f64 v[114:115], v[14:15], s[22:23]
	;; [unrolled: 1-line block ×21, first 2 shown]
	v_add_f64 v[2:3], v[2:3], v[112:113]
	v_mul_f64 v[112:113], v[14:15], s[18:19]
	v_mul_f64 v[14:15], v[14:15], s[28:29]
	v_fma_f64 v[180:181], v[16:17], s[4:5], v[44:45]
	v_fma_f64 v[184:185], v[16:17], s[10:11], v[114:115]
	;; [unrolled: 1-line block ×3, first 2 shown]
	v_fma_f64 v[118:119], v[16:17], s[14:15], -v[118:119]
	v_fma_f64 v[44:45], v[16:17], s[4:5], -v[44:45]
	v_fma_f64 v[190:191], v[18:19], s[12:13], v[122:123]
	v_fma_f64 v[122:123], v[18:19], s[12:13], -v[122:123]
	v_fma_f64 v[192:193], v[18:19], s[16:17], v[124:125]
	;; [unrolled: 2-line block ×5, first 2 shown]
	v_fma_f64 v[200:201], v[24:25], s[12:13], v[134:135]
	v_fma_f64 v[134:135], v[24:25], s[12:13], -v[134:135]
	v_fma_f64 v[202:203], v[24:25], s[4:5], v[136:137]
	v_fma_f64 v[136:137], v[24:25], s[4:5], -v[136:137]
	v_fma_f64 v[204:205], v[24:25], s[6:7], v[138:139]
	v_add_f64 v[2:3], v[2:3], v[110:111]
	v_fma_f64 v[182:183], v[16:17], s[6:7], v[112:113]
	v_fma_f64 v[112:113], v[16:17], s[6:7], -v[112:113]
	v_fma_f64 v[188:189], v[16:17], s[16:17], v[14:15]
	v_fma_f64 v[14:15], v[16:17], s[16:17], -v[14:15]
	v_fma_f64 v[138:139], v[24:25], s[6:7], -v[138:139]
	v_fma_f64 v[206:207], v[24:25], s[14:15], v[26:27]
	v_add_f64 v[118:119], v[4:5], v[118:119]
	v_mul_f64 v[110:111], v[30:31], s[36:37]
	v_mul_f64 v[30:31], v[30:31], s[40:41]
	;; [unrolled: 1-line block ×7, first 2 shown]
	v_fma_f64 v[208:209], v[28:29], s[10:11], v[148:149]
	v_fma_f64 v[148:149], v[28:29], s[10:11], -v[148:149]
	v_fma_f64 v[210:211], v[28:29], s[16:17], v[153:154]
	v_mul_f64 v[172:173], v[38:39], s[36:37]
	v_mul_f64 v[174:175], v[38:39], s[26:27]
	;; [unrolled: 1-line block ×4, first 2 shown]
	v_add_f64 v[2:3], v[2:3], v[106:107]
	v_fma_f64 v[106:107], v[16:17], s[10:11], -v[114:115]
	v_fma_f64 v[114:115], v[16:17], s[12:13], v[116:117]
	v_fma_f64 v[116:117], v[16:17], s[12:13], -v[116:117]
	v_fma_f64 v[16:17], v[18:19], s[6:7], v[120:121]
	v_fma_f64 v[120:121], v[18:19], s[6:7], -v[120:121]
	v_fma_f64 v[18:19], v[18:19], s[4:5], -v[20:21]
	v_fma_f64 v[20:21], v[24:25], s[10:11], v[130:131]
	v_fma_f64 v[130:131], v[24:25], s[10:11], -v[130:131]
	v_add_f64 v[112:113], v[4:5], v[112:113]
	v_add_f64 v[14:15], v[4:5], v[14:15]
	v_mul_f64 v[170:171], v[38:39], s[28:29]
	v_mul_f64 v[38:39], v[38:39], s[30:31]
	v_add_f64 v[2:3], v[2:3], v[104:105]
	v_fma_f64 v[104:105], v[24:25], s[16:17], v[132:133]
	v_fma_f64 v[132:133], v[24:25], s[16:17], -v[132:133]
	v_fma_f64 v[24:25], v[24:25], s[14:15], -v[26:27]
	v_add_f64 v[26:27], v[4:5], v[180:181]
	v_add_f64 v[180:181], v[4:5], v[182:183]
	;; [unrolled: 1-line block ×12, first 2 shown]
	v_fma_f64 v[44:45], v[28:29], s[12:13], v[140:141]
	v_fma_f64 v[188:189], v[28:29], s[4:5], v[110:111]
	v_fma_f64 v[110:111], v[28:29], s[4:5], -v[110:111]
	v_fma_f64 v[118:119], v[28:29], s[6:7], v[30:31]
	v_fma_f64 v[128:129], v[32:33], s[10:11], -v[157:158]
	v_add_f64 v[2:3], v[2:3], v[102:103]
	v_fma_f64 v[102:103], v[28:29], s[12:13], -v[140:141]
	v_fma_f64 v[140:141], v[28:29], s[14:15], v[142:143]
	v_fma_f64 v[142:143], v[28:29], s[14:15], -v[142:143]
	v_add_f64 v[16:17], v[16:17], v[26:27]
	v_add_f64 v[26:27], v[190:191], v[180:181]
	;; [unrolled: 1-line block ×9, first 2 shown]
	v_fma_f64 v[120:121], v[32:33], s[14:15], -v[155:156]
	v_add_f64 v[14:15], v[24:25], v[14:15]
	v_add_f64 v[18:19], v[138:139], v[18:19]
	v_fma_f64 v[124:125], v[32:33], s[10:11], v[157:158]
	v_fma_f64 v[138:139], v[36:37], s[4:5], v[172:173]
	v_add_f64 v[2:3], v[2:3], v[46:47]
	v_fma_f64 v[46:47], v[28:29], s[16:17], -v[153:154]
	v_fma_f64 v[28:29], v[28:29], s[6:7], -v[30:31]
	v_fma_f64 v[30:31], v[32:33], s[14:15], v[155:156]
	v_add_f64 v[16:17], v[20:21], v[16:17]
	v_add_f64 v[20:21], v[104:105], v[26:27]
	;; [unrolled: 1-line block ×10, first 2 shown]
	v_fma_f64 v[153:154], v[32:33], s[6:7], v[159:160]
	v_fma_f64 v[155:156], v[32:33], s[6:7], -v[159:160]
	v_fma_f64 v[106:107], v[32:33], s[16:17], -v[161:162]
	v_fma_f64 v[126:127], v[32:33], s[4:5], v[168:169]
	v_fma_f64 v[130:131], v[32:33], s[4:5], -v[168:169]
	v_fma_f64 v[132:133], v[32:33], s[12:13], v[34:35]
	v_fma_f64 v[134:135], v[36:37], s[16:17], v[170:171]
	v_fma_f64 v[136:137], v[36:37], s[16:17], -v[170:171]
	v_add_f64 v[2:3], v[2:3], v[48:49]
	v_fma_f64 v[48:49], v[32:33], s[16:17], v[161:162]
	v_fma_f64 v[32:33], v[32:33], s[12:13], -v[34:35]
	v_add_f64 v[14:15], v[28:29], v[14:15]
	v_add_f64 v[16:17], v[44:45], v[16:17]
	;; [unrolled: 1-line block ×12, first 2 shown]
	v_fma_f64 v[46:47], v[36:37], s[14:15], v[174:175]
	v_fma_f64 v[110:111], v[36:37], s[14:15], -v[174:175]
	v_fma_f64 v[116:117], v[36:37], s[6:7], v[176:177]
	v_fma_f64 v[118:119], v[36:37], s[6:7], -v[176:177]
	v_fma_f64 v[122:123], v[36:37], s[12:13], v[178:179]
	v_fma_f64 v[142:143], v[36:37], s[10:11], v[38:39]
	v_fma_f64 v[148:149], v[36:37], s[10:11], -v[38:39]
	v_add_f64 v[2:3], v[2:3], v[42:43]
	v_fma_f64 v[42:43], v[36:37], s[4:5], -v[172:173]
	v_fma_f64 v[140:141], v[36:37], s[12:13], -v[178:179]
	v_add_nc_u32_e32 v103, 0x800, v147
	v_add_f64 v[157:158], v[30:31], v[16:17]
	v_add_f64 v[124:125], v[124:125], v[20:21]
	;; [unrolled: 1-line block ×12, first 2 shown]
	v_add_nc_u32_e32 v102, 0x2000, v147
	v_add_f64 v[126:127], v[2:3], v[40:41]
	ds_read2_b64 v[38:41], v100 offset0:112 offset1:164
	ds_read2_b64 v[34:37], v101 offset0:88 offset1:140
	;; [unrolled: 1-line block ×7, first 2 shown]
	v_add_f64 v[130:131], v[134:135], v[157:158]
	v_add_f64 v[124:125], v[138:139], v[124:125]
	v_add_f64 v[132:133], v[46:47], v[153:154]
	v_add_f64 v[128:129], v[42:43], v[128:129]
	v_add_f64 v[116:117], v[116:117], v[44:45]
	v_add_f64 v[118:119], v[118:119], v[48:49]
	v_add_f64 v[104:105], v[122:123], v[104:105]
	v_add_f64 v[110:111], v[110:111], v[24:25]
	v_add_f64 v[106:107], v[142:143], v[106:107]
	v_add_f64 v[112:113], v[148:149], v[112:113]
	v_add_f64 v[114:115], v[140:141], v[114:115]
	v_add_f64 v[120:121], v[136:137], v[120:121]
	v_add_f64 v[122:123], v[126:127], v[22:23]
	ds_read2_b64 v[42:45], v102 offset0:16 offset1:68
	ds_read2_b64 v[22:25], v100 offset0:8 offset1:60
	;; [unrolled: 1-line block ×3, first 2 shown]
	s_waitcnt lgkmcnt(0)
	s_barrier
	buffer_gl0_inv
	ds_write2_b64 v73, v[124:125], v[132:133] offset0:8 offset1:12
	ds_write2_b64 v73, v[116:117], v[104:105] offset0:16 offset1:20
	;; [unrolled: 1-line block ×5, first 2 shown]
	ds_write2_b64 v73, v[122:123], v[130:131] offset1:4
	ds_write_b64 v73, v[120:121] offset:384
	s_and_saveexec_b32 s33, s0
	s_cbranch_execz .LBB0_19
; %bb.18:
	v_add_f64 v[104:105], v[0:1], v[84:85]
	v_add_f64 v[82:83], v[82:83], -v[88:89]
	v_add_f64 v[92:93], v[94:95], -v[92:93]
	v_add_f64 v[94:95], v[60:61], v[66:67]
	v_add_f64 v[90:91], v[90:91], -v[96:97]
	v_add_f64 v[96:97], v[56:57], v[70:71]
	s_mov_b32 s17, 0xbfddbe06
	s_mov_b32 s16, 0x4267c47c
	;; [unrolled: 1-line block ×7, first 2 shown]
	v_add_f64 v[84:85], v[84:85], v[58:59]
	s_mov_b32 s27, 0xbfcea1e5
	v_add_f64 v[62:63], v[62:63], -v[68:69]
	v_add_f64 v[78:79], v[78:79], -v[86:87]
	v_add_f64 v[86:87], v[54:55], v[74:75]
	s_mov_b32 s0, 0xe00740e9
	s_mov_b32 s4, 0xebaa3ed8
	;; [unrolled: 1-line block ×4, first 2 shown]
	v_add_f64 v[88:89], v[104:105], v[98:99]
	v_mul_f64 v[68:69], v[82:83], s[16:17]
	v_mul_f64 v[104:105], v[82:83], s[22:23]
	;; [unrolled: 1-line block ×4, first 2 shown]
	s_mov_b32 s10, 0xb2365da1
	s_mov_b32 s12, 0xd0032e0c
	;; [unrolled: 1-line block ×11, first 2 shown]
	v_add_f64 v[98:99], v[98:99], v[64:65]
	v_mul_f64 v[112:113], v[92:93], s[18:19]
	v_mul_f64 v[114:115], v[92:93], s[20:21]
	;; [unrolled: 1-line block ×5, first 2 shown]
	v_add_f64 v[60:61], v[88:89], v[60:61]
	v_mul_f64 v[88:89], v[82:83], s[18:19]
	v_mul_f64 v[82:83], v[82:83], s[26:27]
	;; [unrolled: 1-line block ×3, first 2 shown]
	v_fma_f64 v[172:173], v[84:85], s[0:1], v[68:69]
	v_fma_f64 v[174:175], v[84:85], s[4:5], v[104:105]
	v_fma_f64 v[104:105], v[84:85], s[4:5], -v[104:105]
	v_fma_f64 v[176:177], v[84:85], s[10:11], v[106:107]
	v_fma_f64 v[106:107], v[84:85], s[10:11], -v[106:107]
	v_fma_f64 v[178:179], v[84:85], s[12:13], v[110:111]
	v_add_f64 v[76:77], v[76:77], -v[80:81]
	v_add_f64 v[80:81], v[52:53], v[50:51]
	v_fma_f64 v[110:111], v[84:85], s[12:13], -v[110:111]
	s_mov_b32 s35, 0x3fedeba7
	s_mov_b32 s34, s20
	v_mul_f64 v[122:123], v[90:91], s[22:23]
	v_mul_f64 v[124:125], v[90:91], s[26:27]
	v_mul_f64 v[126:127], v[90:91], s[34:35]
	v_mul_f64 v[128:129], v[90:91], s[18:19]
	v_mul_f64 v[130:131], v[90:91], s[24:25]
	v_mul_f64 v[90:91], v[90:91], s[16:17]
	v_fma_f64 v[182:183], v[98:99], s[10:11], v[114:115]
	v_add_f64 v[56:57], v[60:61], v[56:57]
	v_fma_f64 v[114:115], v[98:99], s[10:11], -v[114:115]
	v_fma_f64 v[180:181], v[84:85], s[14:15], v[82:83]
	v_fma_f64 v[82:83], v[84:85], s[14:15], -v[82:83]
	v_fma_f64 v[184:185], v[98:99], s[14:15], v[116:117]
	;; [unrolled: 2-line block ×5, first 2 shown]
	v_fma_f64 v[92:93], v[98:99], s[0:1], -v[92:93]
	v_add_f64 v[104:105], v[0:1], v[104:105]
	v_add_f64 v[106:107], v[0:1], v[106:107]
	;; [unrolled: 1-line block ×3, first 2 shown]
	s_mov_b32 s37, 0x3fcea1e5
	s_mov_b32 s39, 0x3fea55e2
	s_mov_b32 s36, s26
	s_mov_b32 s38, s18
	v_mul_f64 v[60:61], v[78:79], s[20:21]
	v_mul_f64 v[132:133], v[78:79], s[30:31]
	;; [unrolled: 1-line block ×3, first 2 shown]
	v_add_f64 v[54:55], v[56:57], v[54:55]
	v_fma_f64 v[56:57], v[84:85], s[0:1], -v[68:69]
	v_fma_f64 v[68:69], v[84:85], s[6:7], v[88:89]
	v_fma_f64 v[88:89], v[84:85], s[6:7], -v[88:89]
	v_fma_f64 v[84:85], v[98:99], s[6:7], v[112:113]
	v_fma_f64 v[112:113], v[98:99], s[6:7], -v[112:113]
	v_add_f64 v[98:99], v[0:1], v[172:173]
	v_add_f64 v[172:173], v[0:1], v[174:175]
	;; [unrolled: 1-line block ×6, first 2 shown]
	v_mul_f64 v[136:137], v[78:79], s[36:37]
	v_mul_f64 v[138:139], v[78:79], s[38:39]
	;; [unrolled: 1-line block ×3, first 2 shown]
	v_fma_f64 v[190:191], v[94:95], s[14:15], v[124:125]
	v_fma_f64 v[124:125], v[94:95], s[14:15], -v[124:125]
	v_fma_f64 v[192:193], v[94:95], s[10:11], v[126:127]
	v_fma_f64 v[126:127], v[94:95], s[10:11], -v[126:127]
	;; [unrolled: 2-line block ×3, first 2 shown]
	v_fma_f64 v[200:201], v[94:95], s[0:1], v[90:91]
	v_add_f64 v[52:53], v[54:55], v[52:53]
	v_fma_f64 v[54:55], v[94:95], s[4:5], v[122:123]
	v_add_f64 v[68:69], v[0:1], v[68:69]
	v_add_f64 v[88:89], v[0:1], v[88:89]
	;; [unrolled: 1-line block ×3, first 2 shown]
	v_fma_f64 v[122:123], v[94:95], s[4:5], -v[122:123]
	v_fma_f64 v[90:91], v[94:95], s[0:1], -v[90:91]
	v_add_f64 v[84:85], v[84:85], v[98:99]
	v_add_f64 v[98:99], v[116:117], v[104:105]
	;; [unrolled: 1-line block ×7, first 2 shown]
	v_mul_f64 v[142:143], v[76:77], s[28:29]
	v_mul_f64 v[148:149], v[76:77], s[18:19]
	v_fma_f64 v[56:57], v[96:97], s[12:13], v[132:133]
	v_fma_f64 v[132:133], v[96:97], s[12:13], -v[132:133]
	v_fma_f64 v[120:121], v[96:97], s[6:7], v[138:139]
	v_mul_f64 v[140:141], v[76:77], s[24:25]
	v_mul_f64 v[153:154], v[76:77], s[36:37]
	;; [unrolled: 1-line block ×3, first 2 shown]
	v_add_f64 v[50:51], v[52:53], v[50:51]
	v_fma_f64 v[52:53], v[94:95], s[12:13], v[130:131]
	v_fma_f64 v[130:131], v[94:95], s[12:13], -v[130:131]
	v_add_f64 v[68:69], v[182:183], v[68:69]
	v_add_f64 v[88:89], v[114:115], v[88:89]
	;; [unrolled: 1-line block ×5, first 2 shown]
	v_fma_f64 v[112:113], v[96:97], s[6:7], -v[138:139]
	v_fma_f64 v[138:139], v[96:97], s[0:1], v[78:79]
	v_add_f64 v[54:55], v[54:55], v[84:85]
	v_mul_f64 v[76:77], v[76:77], s[16:17]
	v_fma_f64 v[180:181], v[96:97], s[10:11], v[60:61]
	v_fma_f64 v[60:61], v[96:97], s[10:11], -v[60:61]
	v_fma_f64 v[198:199], v[96:97], s[4:5], v[134:135]
	v_fma_f64 v[92:93], v[96:97], s[14:15], v[136:137]
	v_fma_f64 v[118:119], v[96:97], s[14:15], -v[136:137]
	v_fma_f64 v[78:79], v[96:97], s[0:1], -v[78:79]
	v_add_f64 v[90:91], v[90:91], v[106:107]
	v_mul_f64 v[157:158], v[62:63], s[26:27]
	v_mul_f64 v[159:160], v[62:63], s[24:25]
	;; [unrolled: 1-line block ×3, first 2 shown]
	v_add_f64 v[50:51], v[50:51], v[74:75]
	v_fma_f64 v[73:74], v[96:97], s[4:5], -v[134:135]
	v_add_f64 v[96:97], v[200:201], v[104:105]
	v_add_f64 v[68:69], v[190:191], v[68:69]
	;; [unrolled: 1-line block ×10, first 2 shown]
	v_mul_f64 v[168:169], v[62:63], s[20:21]
	v_mul_f64 v[170:171], v[62:63], s[28:29]
	;; [unrolled: 1-line block ×3, first 2 shown]
	v_fma_f64 v[136:137], v[86:87], s[4:5], v[142:143]
	v_fma_f64 v[106:107], v[86:87], s[6:7], v[148:149]
	;; [unrolled: 1-line block ×5, first 2 shown]
	v_fma_f64 v[124:125], v[86:87], s[10:11], -v[155:156]
	v_fma_f64 v[116:117], v[86:87], s[14:15], -v[153:154]
	v_add_f64 v[50:51], v[50:51], v[70:71]
	v_fma_f64 v[70:71], v[86:87], s[4:5], -v[142:143]
	v_add_f64 v[73:74], v[73:74], v[90:91]
	v_add_f64 v[56:57], v[56:57], v[68:69]
	;; [unrolled: 1-line block ×8, first 2 shown]
	v_fma_f64 v[75:76], v[86:87], s[0:1], -v[76:77]
	v_add_f64 v[92:93], v[118:119], v[104:105]
	v_fma_f64 v[110:111], v[86:87], s[6:7], -v[148:149]
	v_add_f64 v[77:78], v[78:79], v[94:95]
	v_fma_f64 v[134:135], v[86:87], s[12:13], v[140:141]
	v_add_f64 v[54:55], v[180:181], v[54:55]
	v_add_f64 v[0:1], v[60:61], v[0:1]
	v_fma_f64 v[94:95], v[80:81], s[12:13], v[159:160]
	v_fma_f64 v[112:113], v[80:81], s[0:1], v[62:63]
	;; [unrolled: 1-line block ×4, first 2 shown]
	v_fma_f64 v[62:63], v[80:81], s[0:1], -v[62:63]
	v_add_f64 v[50:51], v[50:51], v[66:67]
	v_fma_f64 v[66:67], v[86:87], s[12:13], -v[140:141]
	v_fma_f64 v[104:105], v[80:81], s[4:5], v[170:171]
	v_add_f64 v[56:57], v[136:137], v[56:57]
	v_add_f64 v[68:69], v[70:71], v[68:69]
	;; [unrolled: 1-line block ×7, first 2 shown]
	v_fma_f64 v[60:61], v[80:81], s[6:7], -v[161:162]
	v_add_f64 v[73:74], v[116:117], v[73:74]
	v_add_f64 v[75:76], v[75:76], v[92:93]
	v_fma_f64 v[90:91], v[80:81], s[10:11], -v[168:169]
	v_add_f64 v[77:78], v[110:111], v[77:78]
	v_fma_f64 v[92:93], v[80:81], s[12:13], -v[159:160]
	v_fma_f64 v[86:87], v[80:81], s[14:15], v[157:158]
	v_add_f64 v[54:55], v[134:135], v[54:55]
	v_add_f64 v[50:51], v[50:51], v[64:65]
	v_fma_f64 v[64:65], v[80:81], s[4:5], -v[170:171]
	v_fma_f64 v[79:80], v[80:81], s[14:15], -v[157:158]
	v_add_f64 v[0:1], v[66:67], v[0:1]
	v_add_f64 v[56:57], v[112:113], v[56:57]
	;; [unrolled: 1-line block ×13, first 2 shown]
	v_mul_u32_u24_e32 v58, 52, v72
	v_add_f64 v[0:1], v[79:80], v[0:1]
	v_or_b32_e32 v58, v58, v145
	v_lshl_add_u32 v58, v58, 3, 0
	ds_write2_b64 v58, v[56:57], v[66:67] offset0:8 offset1:12
	ds_write2_b64 v58, v[68:69], v[70:71] offset0:16 offset1:20
	;; [unrolled: 1-line block ×5, first 2 shown]
	ds_write2_b64 v58, v[50:51], v[54:55] offset1:4
	ds_write_b64 v58, v[0:1] offset:384
.LBB0_19:
	s_or_b32 exec_lo, exec_lo, s33
	v_and_b32_e32 v0, 0xff, v255
	v_and_b32_e32 v1, 0xff, v163
	v_mov_b32_e32 v78, 0x4ec5
	v_mov_b32_e32 v145, 0
	s_waitcnt lgkmcnt(0)
	v_mul_lo_u16 v0, 0x4f, v0
	v_mul_lo_u16 v1, 0x4f, v1
	v_mul_u32_u24_sdwa v98, v166, v78 dst_sel:DWORD dst_unused:UNUSED_PAD src0_sel:WORD_0 src1_sel:DWORD
	v_mul_u32_u24_sdwa v99, v165, v78 dst_sel:DWORD dst_unused:UNUSED_PAD src0_sel:WORD_0 src1_sel:DWORD
	;; [unrolled: 1-line block ×3, first 2 shown]
	v_lshrrev_b16 v0, 12, v0
	v_lshrrev_b16 v1, 12, v1
	v_lshrrev_b32_e32 v50, 20, v98
	v_lshrrev_b32_e32 v51, 20, v99
	;; [unrolled: 1-line block ×3, first 2 shown]
	v_mul_lo_u16 v0, v0, 52
	v_mul_lo_u16 v1, v1, 52
	;; [unrolled: 1-line block ×5, first 2 shown]
	v_sub_nc_u16 v0, v255, v0
	v_lshlrev_b64 v[74:75], 4, v[144:145]
	v_sub_nc_u16 v1, v163, v1
	v_sub_nc_u16 v50, v166, v50
	;; [unrolled: 1-line block ×4, first 2 shown]
	v_and_b32_e32 v144, 0xff, v0
	v_and_b32_e32 v146, 0xff, v1
	v_add_co_u32 v76, s0, s8, v74
	v_and_b32_e32 v148, 0xffff, v50
	v_and_b32_e32 v149, 0xffff, v51
	;; [unrolled: 1-line block ×3, first 2 shown]
	v_add_co_ci_u32_e64 v77, s0, s9, v75, s0
	v_lshlrev_b32_e32 v0, 4, v144
	v_lshlrev_b32_e32 v1, 4, v146
	;; [unrolled: 1-line block ×5, first 2 shown]
	s_barrier
	buffer_gl0_inv
	s_clause 0x5
	global_load_dwordx4 v[70:73], v[76:77], off offset:800
	global_load_dwordx4 v[66:69], v0, s[8:9] offset:800
	global_load_dwordx4 v[62:65], v1, s[8:9] offset:800
	;; [unrolled: 1-line block ×5, first 2 shown]
	s_clause 0x2
	buffer_load_dword v210, off, s[44:47], 0 offset:24
	buffer_load_dword v209, off, s[44:47], 0 offset:20
	;; [unrolled: 1-line block ×3, first 2 shown]
	v_mul_u32_u24_sdwa v143, v167, v78 dst_sel:DWORD dst_unused:UNUSED_PAD src0_sel:WORD_0 src1_sel:DWORD
	v_mul_u32_u24_sdwa v0, v151, v78 dst_sel:DWORD dst_unused:UNUSED_PAD src0_sel:WORD_0 src1_sel:DWORD
	v_mov_b32_e32 v153, v145
	v_lshrrev_b32_e32 v188, 21, v142
	s_mov_b32 s4, 0xe8584caa
	v_lshrrev_b32_e32 v80, 20, v143
	v_lshrrev_b32_e32 v0, 20, v0
	v_lshrrev_b32_e32 v189, 21, v143
	s_mov_b32 s5, 0x3febb67a
	s_mov_b32 s7, 0xbfebb67a
	v_mul_lo_u16 v80, v80, 52
	v_mul_lo_u16 v0, v0, 52
	s_mov_b32 s6, s4
	v_sub_nc_u16 v80, v167, v80
	v_sub_nc_u16 v0, v151, v0
	v_mov_b32_e32 v151, v145
	v_and_b32_e32 v159, 0xffff, v80
	v_and_b32_e32 v160, 0xffff, v0
	v_lshlrev_b32_e32 v0, 4, v159
	s_waitcnt vmcnt(2)
	v_mul_u32_u24_sdwa v1, v210, v78 dst_sel:DWORD dst_unused:UNUSED_PAD src0_sel:WORD_0 src1_sel:DWORD
	s_waitcnt vmcnt(1)
	v_mul_u32_u24_sdwa v79, v209, v78 dst_sel:DWORD dst_unused:UNUSED_PAD src0_sel:WORD_0 src1_sel:DWORD
	;; [unrolled: 2-line block ×3, first 2 shown]
	v_lshrrev_b32_e32 v1, 20, v1
	v_lshrrev_b32_e32 v79, 20, v79
	v_lshrrev_b32_e32 v78, 20, v78
	v_mul_lo_u16 v1, v1, 52
	v_mul_lo_u16 v79, v79, 52
	;; [unrolled: 1-line block ×3, first 2 shown]
	v_sub_nc_u16 v1, v210, v1
	v_sub_nc_u16 v79, v209, v79
	;; [unrolled: 1-line block ×3, first 2 shown]
	v_and_b32_e32 v161, 0xffff, v1
	v_and_b32_e32 v162, 0xffff, v79
	;; [unrolled: 1-line block ×3, first 2 shown]
	v_lshlrev_b32_e32 v1, 4, v160
	v_lshlrev_b32_e32 v86, 4, v161
	;; [unrolled: 1-line block ×4, first 2 shown]
	s_clause 0x4
	global_load_dwordx4 v[78:81], v0, s[8:9] offset:800
	global_load_dwordx4 v[82:85], v1, s[8:9] offset:800
	global_load_dwordx4 v[86:89], v86, s[8:9] offset:800
	global_load_dwordx4 v[90:93], v90, s[8:9] offset:800
	global_load_dwordx4 v[94:97], v94, s[8:9] offset:800
	ds_read2_b64 v[104:107], v147 offset1:52
	ds_read2_b64 v[110:113], v100 offset0:112 offset1:164
	ds_read2_b64 v[114:117], v147 offset0:104 offset1:156
	;; [unrolled: 1-line block ×11, first 2 shown]
	v_lshlrev_b64 v[0:1], 4, v[152:153]
	v_lshrrev_b32_e32 v152, 21, v98
	v_lshrrev_b32_e32 v153, 21, v99
	v_lshlrev_b64 v[98:99], 4, v[150:151]
	v_lshl_add_u32 v150, v160, 3, 0
	v_lshl_add_u32 v151, v161, 3, 0
	v_add_co_u32 v142, s0, s8, v0
	v_add_co_ci_u32_e64 v143, s0, s9, v1, s0
	v_lshl_add_u32 v0, v144, 3, 0
	v_lshl_add_u32 v1, v146, 3, 0
	;; [unrolled: 1-line block ×6, first 2 shown]
	v_mul_lo_u16 v190, 0x68, v152
	v_mul_lo_u16 v191, 0x68, v153
	v_lshl_add_u32 v152, v162, 3, 0
	v_lshl_add_u32 v153, v163, 3, 0
	v_add_nc_u32_e32 v192, 0x400, v0
	v_add_nc_u32_e32 v193, 0x800, v1
	v_add_nc_u32_e32 v194, 0x1000, v148
	v_add_nc_u32_e32 v195, 0x1400, v149
	s_waitcnt lgkmcnt(10)
	v_mul_f64 v[0:1], v[110:111], v[72:73]
	v_mul_f64 v[148:149], v[38:39], v[72:73]
	v_add_nc_u32_e32 v196, 0x1800, v150
	v_add_nc_u32_e32 v197, 0x1800, v151
	v_mul_f64 v[150:151], v[112:113], v[72:73]
	v_mul_f64 v[72:73], v[40:41], v[72:73]
	v_add_nc_u32_e32 v198, 0x2000, v152
	v_add_nc_u32_e32 v199, 0x2000, v153
	s_waitcnt lgkmcnt(8)
	v_mul_f64 v[152:153], v[118:119], v[68:69]
	v_mul_f64 v[68:69], v[34:35], v[68:69]
	;; [unrolled: 1-line block ×4, first 2 shown]
	s_waitcnt lgkmcnt(6)
	v_mul_f64 v[160:161], v[126:127], v[60:61]
	v_mul_f64 v[60:61], v[30:31], v[60:61]
	v_mul_f64 v[162:163], v[128:129], v[56:57]
	v_mul_f64 v[56:57], v[32:33], v[56:57]
	s_waitcnt lgkmcnt(4)
	v_mul_f64 v[176:177], v[134:135], v[52:53]
	v_mul_f64 v[52:53], v[26:27], v[52:53]
	v_add_nc_u32_e32 v144, 0x800, v144
	s_waitcnt vmcnt(0) lgkmcnt(0)
	s_barrier
	buffer_gl0_inv
	v_fma_f64 v[0:1], v[38:39], v[70:71], -v[0:1]
	v_fma_f64 v[38:39], v[110:111], v[70:71], v[148:149]
	v_add_nc_u32_e32 v146, 0x1000, v146
	v_add_co_u32 v98, s0, s8, v98
	v_fma_f64 v[40:41], v[40:41], v[70:71], -v[150:151]
	v_fma_f64 v[70:71], v[112:113], v[70:71], v[72:73]
	v_add_co_ci_u32_e64 v99, s0, s9, v99, s0
	v_fma_f64 v[34:35], v[34:35], v[66:67], -v[152:153]
	v_fma_f64 v[66:67], v[118:119], v[66:67], v[68:69]
	v_fma_f64 v[36:37], v[36:37], v[62:63], -v[158:159]
	v_fma_f64 v[62:63], v[120:121], v[62:63], v[64:65]
	;; [unrolled: 2-line block ×5, first 2 shown]
	v_add_f64 v[0:1], v[6:7], -v[0:1]
	v_add_f64 v[72:73], v[104:105], -v[38:39]
	;; [unrolled: 1-line block ×13, first 2 shown]
	v_fma_f64 v[6:7], v[6:7], 2.0, -v[0:1]
	v_fma_f64 v[8:9], v[8:9], 2.0, -v[38:39]
	;; [unrolled: 1-line block ×7, first 2 shown]
	v_mul_f64 v[178:179], v[136:137], v[80:81]
	v_mul_f64 v[180:181], v[154:155], v[84:85]
	;; [unrolled: 1-line block ×10, first 2 shown]
	v_fma_f64 v[28:29], v[28:29], v[78:79], -v[178:179]
	v_fma_f64 v[42:43], v[42:43], v[82:83], -v[180:181]
	;; [unrolled: 1-line block ×5, first 2 shown]
	v_fma_f64 v[52:53], v[136:137], v[78:79], v[80:81]
	v_fma_f64 v[56:57], v[154:155], v[82:83], v[84:85]
	;; [unrolled: 1-line block ×5, first 2 shown]
	v_fma_f64 v[78:79], v[106:107], 2.0, -v[70:71]
	v_fma_f64 v[80:81], v[114:115], 2.0, -v[66:67]
	;; [unrolled: 1-line block ×5, first 2 shown]
	v_add_f64 v[28:29], v[16:17], -v[28:29]
	v_add_f64 v[40:41], v[18:19], -v[42:43]
	;; [unrolled: 1-line block ×11, first 2 shown]
	v_fma_f64 v[68:69], v[104:105], 2.0, -v[72:73]
	v_fma_f64 v[16:17], v[16:17], 2.0, -v[28:29]
	;; [unrolled: 1-line block ×12, first 2 shown]
	ds_write2_b64 v147, v[6:7], v[0:1] offset1:52
	ds_write2_b64 v147, v[8:9], v[38:39] offset0:104 offset1:156
	ds_write2_b64 v192, v[10:11], v[34:35] offset0:80 offset1:132
	;; [unrolled: 1-line block ×11, first 2 shown]
	s_waitcnt lgkmcnt(0)
	s_barrier
	buffer_gl0_inv
	ds_read2_b64 v[0:3], v147 offset1:52
	ds_read2_b64 v[4:7], v103 offset0:160 offset1:212
	ds_read2_b64 v[8:11], v108 offset0:64 offset1:116
	;; [unrolled: 1-line block ×11, first 2 shown]
	s_waitcnt lgkmcnt(0)
	s_barrier
	buffer_gl0_inv
	ds_write2_b64 v147, v[68:69], v[72:73] offset1:52
	ds_write2_b64 v147, v[78:79], v[70:71] offset0:104 offset1:156
	ds_write2_b64 v192, v[80:81], v[66:67] offset0:80 offset1:132
	;; [unrolled: 1-line block ×11, first 2 shown]
	v_sub_nc_u16 v64, v166, v190
	v_mul_lo_u16 v65, 0x68, v188
	v_sub_nc_u16 v66, v165, v191
	s_waitcnt lgkmcnt(0)
	s_barrier
	v_and_b32_e32 v110, 0xffff, v64
	v_mul_lo_u16 v64, 0x68, v189
	v_sub_nc_u16 v65, v164, v65
	v_and_b32_e32 v111, 0xffff, v66
	buffer_gl0_inv
	s_clause 0x1
	global_load_dwordx4 v[48:51], v[142:143], off offset:1648
	global_load_dwordx4 v[52:55], v[142:143], off offset:1632
	v_sub_nc_u16 v72, v167, v64
	s_clause 0x1
	global_load_dwordx4 v[56:59], v[98:99], off offset:1648
	global_load_dwordx4 v[60:63], v[98:99], off offset:1632
	v_lshlrev_b32_e32 v68, 5, v110
	v_and_b32_e32 v112, 0xffff, v65
	v_lshlrev_b32_e32 v73, 5, v111
	v_and_b32_e32 v114, 0xffff, v72
	s_clause 0x1
	global_load_dwordx4 v[64:67], v68, s[8:9] offset:1632
	global_load_dwordx4 v[68:71], v68, s[8:9] offset:1648
	v_lshlrev_b32_e32 v72, 5, v112
	s_clause 0x1
	global_load_dwordx4 v[78:81], v73, s[8:9] offset:1632
	global_load_dwordx4 v[82:85], v73, s[8:9] offset:1648
	v_lshlrev_b32_e32 v73, 5, v114
	s_clause 0x3
	global_load_dwordx4 v[86:89], v72, s[8:9] offset:1632
	global_load_dwordx4 v[90:93], v72, s[8:9] offset:1648
	;; [unrolled: 1-line block ×4, first 2 shown]
	v_lshl_add_u32 v144, v110, 3, 0
	v_lshl_add_u32 v146, v111, 3, 0
	;; [unrolled: 1-line block ×3, first 2 shown]
	ds_read2_b64 v[110:113], v103 offset0:160 offset1:212
	v_lshl_add_u32 v203, v114, 3, 0
	ds_read2_b64 v[114:117], v108 offset0:64 offset1:116
	ds_read2_b64 v[118:121], v147 offset1:52
	ds_read2_b64 v[122:125], v100 offset0:8 offset1:60
	ds_read2_b64 v[126:129], v147 offset0:104 offset1:156
	;; [unrolled: 1-line block ×9, first 2 shown]
	v_add_co_u32 v72, s0, 0x1000, v76
	v_add_co_ci_u32_e64 v73, s0, 0, v77, s0
	v_add_co_u32 v98, s0, 0x1800, v76
	v_add_co_ci_u32_e64 v99, s0, 0, v77, s0
	v_add_nc_u32_e32 v204, 0x1000, v144
	v_add_nc_u32_e32 v205, 0x1000, v146
	;; [unrolled: 1-line block ×4, first 2 shown]
	s_waitcnt vmcnt(0) lgkmcnt(0)
	s_barrier
	buffer_gl0_inv
	v_mul_f64 v[158:159], v[114:115], v[50:51]
	v_mul_f64 v[142:143], v[110:111], v[54:55]
	;; [unrolled: 1-line block ×32, first 2 shown]
	v_fma_f64 v[4:5], v[4:5], v[52:53], -v[142:143]
	v_fma_f64 v[110:111], v[110:111], v[52:53], v[148:149]
	v_fma_f64 v[8:9], v[8:9], v[48:49], -v[158:159]
	v_fma_f64 v[114:115], v[114:115], v[48:49], v[160:161]
	v_fma_f64 v[112:113], v[112:113], v[60:61], v[172:173]
	;; [unrolled: 1-line block ×3, first 2 shown]
	v_fma_f64 v[6:7], v[6:7], v[60:61], -v[162:163]
	v_fma_f64 v[10:11], v[10:11], v[56:57], -v[174:175]
	;; [unrolled: 1-line block ×3, first 2 shown]
	v_fma_f64 v[52:53], v[122:123], v[52:53], v[54:55]
	v_fma_f64 v[20:21], v[20:21], v[48:49], -v[180:181]
	v_fma_f64 v[48:49], v[130:131], v[48:49], v[50:51]
	v_fma_f64 v[18:19], v[18:19], v[60:61], -v[182:183]
	;; [unrolled: 2-line block ×11, first 2 shown]
	v_fma_f64 v[70:71], v[170:171], v[104:105], v[106:107]
	v_add_f64 v[80:81], v[4:5], v[8:9]
	v_add_f64 v[86:87], v[110:111], v[114:115]
	;; [unrolled: 1-line block ×4, first 2 shown]
	v_add_f64 v[82:83], v[110:111], -v[114:115]
	v_add_f64 v[84:85], v[118:119], v[110:111]
	v_add_f64 v[92:93], v[112:113], -v[116:117]
	v_add_f64 v[94:95], v[120:121], v[112:113]
	v_add_f64 v[106:107], v[16:17], v[20:21]
	v_add_f64 v[110:111], v[52:53], -v[48:49]
	v_add_f64 v[112:113], v[126:127], v[52:53]
	v_add_f64 v[52:53], v[52:53], v[48:49]
	v_add_f64 v[124:125], v[18:19], v[22:23]
	v_add_f64 v[130:131], v[50:51], -v[54:55]
	v_add_f64 v[132:133], v[128:129], v[50:51]
	;; [unrolled: 4-line block ×6, first 2 shown]
	v_add_f64 v[68:69], v[68:69], v[70:71]
	v_add_f64 v[78:79], v[0:1], v[4:5]
	;; [unrolled: 1-line block ×3, first 2 shown]
	v_add_f64 v[4:5], v[4:5], -v[8:9]
	v_add_f64 v[6:7], v[6:7], -v[10:11]
	v_add_f64 v[104:105], v[12:13], v[16:17]
	v_add_f64 v[122:123], v[14:15], v[18:19]
	v_fma_f64 v[0:1], v[80:81], -0.5, v[0:1]
	v_fma_f64 v[80:81], v[86:87], -0.5, v[118:119]
	;; [unrolled: 1-line block ×4, first 2 shown]
	v_add_f64 v[16:17], v[16:17], -v[20:21]
	v_add_f64 v[18:19], v[18:19], -v[22:23]
	v_fma_f64 v[12:13], v[106:107], -0.5, v[12:13]
	v_fma_f64 v[52:53], v[52:53], -0.5, v[126:127]
	;; [unrolled: 1-line block ×4, first 2 shown]
	v_add_f64 v[138:139], v[24:25], v[28:29]
	v_add_f64 v[28:29], v[28:29], -v[32:33]
	v_fma_f64 v[24:25], v[140:141], -0.5, v[24:25]
	v_fma_f64 v[56:57], v[56:57], -0.5, v[134:135]
	v_add_f64 v[150:151], v[26:27], v[30:31]
	v_add_f64 v[30:31], v[30:31], -v[34:35]
	v_fma_f64 v[26:27], v[152:153], -0.5, v[26:27]
	v_fma_f64 v[60:61], v[60:61], -0.5, v[136:137]
	;; [unrolled: 4-line block ×4, first 2 shown]
	v_add_f64 v[8:9], v[78:79], v[8:9]
	v_add_f64 v[78:79], v[84:85], v[114:115]
	;; [unrolled: 1-line block ×6, first 2 shown]
	v_fma_f64 v[88:89], v[82:83], s[4:5], v[0:1]
	v_fma_f64 v[0:1], v[82:83], s[6:7], v[0:1]
	;; [unrolled: 1-line block ×7, first 2 shown]
	v_add_f64 v[48:49], v[112:113], v[48:49]
	v_add_f64 v[54:55], v[132:133], v[54:55]
	v_fma_f64 v[2:3], v[92:93], s[6:7], v[2:3]
	v_fma_f64 v[6:7], v[110:111], s[4:5], v[12:13]
	;; [unrolled: 1-line block ×9, first 2 shown]
	v_add_f64 v[32:33], v[138:139], v[32:33]
	v_add_f64 v[58:59], v[148:149], v[58:59]
	v_fma_f64 v[18:19], v[142:143], s[4:5], v[24:25]
	v_fma_f64 v[110:111], v[28:29], s[6:7], v[56:57]
	v_fma_f64 v[24:25], v[142:143], s[6:7], v[24:25]
	v_fma_f64 v[56:57], v[28:29], s[4:5], v[56:57]
	v_add_f64 v[34:35], v[150:151], v[34:35]
	v_add_f64 v[62:63], v[160:161], v[62:63]
	v_fma_f64 v[96:97], v[158:159], s[4:5], v[26:27]
	v_fma_f64 v[112:113], v[30:31], s[6:7], v[60:61]
	v_fma_f64 v[26:27], v[158:159], s[6:7], v[26:27]
	v_fma_f64 v[60:61], v[30:31], s[4:5], v[60:61]
	;; [unrolled: 6-line block ×4, first 2 shown]
	ds_write2_b64 v147, v[8:9], v[10:11] offset1:52
	ds_write2_b64 v103, v[20:21], v[22:23] offset0:56 offset1:108
	ds_write2_b64 v147, v[88:89], v[4:5] offset0:104 offset1:156
	;; [unrolled: 1-line block ×6, first 2 shown]
	ds_write_b64 v144, v[24:25] offset:6656
	ds_write2_b64 v205, v[34:35], v[96:97] offset0:112 offset1:216
	ds_write_b64 v146, v[26:27] offset:6656
	ds_write2_b64 v206, v[44:45], v[104:105] offset0:40 offset1:144
	;; [unrolled: 2-line block ×3, first 2 shown]
	ds_write_b64 v203, v[38:39] offset:9152
	s_waitcnt lgkmcnt(0)
	s_barrier
	buffer_gl0_inv
	ds_read2_b64 v[0:3], v147 offset1:52
	ds_read2_b64 v[4:7], v100 offset0:112 offset1:164
	ds_read2_b64 v[8:11], v147 offset0:104 offset1:156
	;; [unrolled: 1-line block ×11, first 2 shown]
	s_waitcnt lgkmcnt(0)
	s_barrier
	buffer_gl0_inv
	ds_write2_b64 v147, v[78:79], v[84:85] offset1:52
	ds_write2_b64 v147, v[82:83], v[90:91] offset0:104 offset1:156
	ds_write2_b64 v109, v[80:81], v[86:87] offset0:80 offset1:132
	;; [unrolled: 1-line block ×6, first 2 shown]
	ds_write_b64 v144, v[56:57] offset:6656
	ds_write2_b64 v205, v[62:63], v[112:113] offset0:112 offset1:216
	ds_write_b64 v146, v[60:61] offset:6656
	ds_write2_b64 v206, v[66:67], v[114:115] offset0:40 offset1:144
	;; [unrolled: 2-line block ×3, first 2 shown]
	ds_write_b64 v203, v[68:69] offset:9152
	v_add_co_u32 v52, s0, 0x2000, v76
	v_add_co_ci_u32_e64 v53, s0, 0, v77, s0
	s_waitcnt lgkmcnt(0)
	s_barrier
	buffer_gl0_inv
	s_clause 0x5
	global_load_dwordx4 v[48:51], v[72:73], off offset:864
	global_load_dwordx4 v[54:57], v[72:73], off offset:1696
	;; [unrolled: 1-line block ×6, first 2 shown]
	ds_read2_b64 v[78:81], v100 offset0:112 offset1:164
	ds_read2_b64 v[82:85], v101 offset0:88 offset1:140
	ds_read2_b64 v[86:89], v147 offset1:52
	ds_read2_b64 v[90:93], v108 offset0:64 offset1:116
	ds_read2_b64 v[94:97], v147 offset0:104 offset1:156
	;; [unrolled: 1-line block ×9, first 2 shown]
	s_waitcnt vmcnt(0) lgkmcnt(0)
	s_barrier
	buffer_gl0_inv
	v_mul_f64 v[140:141], v[82:83], v[60:61]
	v_mul_f64 v[98:99], v[78:79], v[50:51]
	;; [unrolled: 1-line block ×22, first 2 shown]
	v_fma_f64 v[12:13], v[12:13], v[58:59], -v[140:141]
	v_fma_f64 v[4:5], v[4:5], v[48:49], -v[98:99]
	;; [unrolled: 1-line block ×10, first 2 shown]
	v_mul_f64 v[68:69], v[44:45], v[68:69]
	v_mul_f64 v[72:73], v[46:47], v[72:73]
	v_fma_f64 v[44:45], v[44:45], v[66:67], -v[168:169]
	v_fma_f64 v[46:47], v[46:47], v[70:71], -v[170:171]
	v_fma_f64 v[78:79], v[78:79], v[48:49], v[134:135]
	v_fma_f64 v[80:81], v[80:81], v[54:55], v[138:139]
	;; [unrolled: 1-line block ×8, first 2 shown]
	v_add_f64 v[12:13], v[8:9], -v[12:13]
	v_add_f64 v[4:5], v[0:1], -v[4:5]
	;; [unrolled: 1-line block ×10, first 2 shown]
	v_fma_f64 v[54:55], v[122:123], v[58:59], v[60:61]
	v_fma_f64 v[56:57], v[124:125], v[62:63], v[64:65]
	v_add_f64 v[44:45], v[40:41], -v[44:45]
	v_add_f64 v[46:47], v[42:43], -v[46:47]
	v_fma_f64 v[58:59], v[130:131], v[66:67], v[68:69]
	v_fma_f64 v[60:61], v[132:133], v[70:71], v[72:73]
	v_add_f64 v[62:63], v[86:87], -v[78:79]
	v_add_f64 v[64:65], v[88:89], -v[80:81]
	;; [unrolled: 1-line block ×6, first 2 shown]
	v_fma_f64 v[8:9], v[8:9], 2.0, -v[12:13]
	v_fma_f64 v[0:1], v[0:1], 2.0, -v[4:5]
	v_fma_f64 v[2:3], v[2:3], 2.0, -v[6:7]
	v_fma_f64 v[10:11], v[10:11], 2.0, -v[14:15]
	v_fma_f64 v[16:17], v[16:17], 2.0, -v[20:21]
	v_fma_f64 v[18:19], v[18:19], 2.0, -v[22:23]
	v_fma_f64 v[24:25], v[24:25], 2.0, -v[28:29]
	v_fma_f64 v[26:27], v[26:27], 2.0, -v[30:31]
	v_fma_f64 v[32:33], v[32:33], 2.0, -v[36:37]
	v_fma_f64 v[34:35], v[34:35], 2.0, -v[38:39]
	v_add_f64 v[48:49], v[110:111], -v[48:49]
	v_add_f64 v[50:51], v[112:113], -v[50:51]
	v_fma_f64 v[40:41], v[40:41], 2.0, -v[44:45]
	v_fma_f64 v[42:43], v[42:43], 2.0, -v[46:47]
	v_add_f64 v[54:55], v[118:119], -v[54:55]
	v_add_f64 v[56:57], v[120:121], -v[56:57]
	;; [unrolled: 1-line block ×4, first 2 shown]
	ds_write2_b64 v103, v[4:5], v[6:7] offset0:56 offset1:108
	ds_write2_b64 v103, v[12:13], v[14:15] offset0:160 offset1:212
	ds_write2_b64 v100, v[20:21], v[22:23] offset0:8 offset1:60
	ds_write2_b64 v108, v[28:29], v[30:31] offset0:168 offset1:220
	ds_write2_b64 v102, v[36:37], v[38:39] offset0:16 offset1:68
	ds_write2_b64 v102, v[44:45], v[46:47] offset0:120 offset1:172
	ds_write2_b64 v147, v[0:1], v[2:3] offset1:52
	ds_write2_b64 v147, v[8:9], v[10:11] offset0:104 offset1:156
	ds_write2_b64 v109, v[16:17], v[18:19] offset0:80 offset1:132
	;; [unrolled: 1-line block ×5, first 2 shown]
	s_waitcnt lgkmcnt(0)
	s_barrier
	buffer_gl0_inv
	ds_read2_b64 v[0:3], v147 offset1:52
	ds_read2_b64 v[24:27], v100 offset0:112 offset1:164
	ds_read2_b64 v[4:7], v147 offset0:104 offset1:156
	;; [unrolled: 1-line block ×11, first 2 shown]
	v_fma_f64 v[78:79], v[86:87], 2.0, -v[62:63]
	v_fma_f64 v[80:81], v[88:89], 2.0, -v[64:65]
	;; [unrolled: 1-line block ×12, first 2 shown]
	s_waitcnt lgkmcnt(0)
	s_barrier
	buffer_gl0_inv
	ds_write2_b64 v147, v[78:79], v[80:81] offset1:52
	ds_write2_b64 v103, v[62:63], v[64:65] offset0:56 offset1:108
	ds_write2_b64 v147, v[82:83], v[84:85] offset0:104 offset1:156
	;; [unrolled: 1-line block ×11, first 2 shown]
	s_waitcnt lgkmcnt(0)
	s_barrier
	buffer_gl0_inv
	s_and_saveexec_b32 s0, vcc_lo
	s_cbranch_execz .LBB0_21
; %bb.20:
	v_add_co_u32 v86, vcc_lo, 0x340, v76
	v_add_co_ci_u32_e32 v87, vcc_lo, 0, v77, vcc_lo
	v_add_co_u32 v80, vcc_lo, 0x680, v76
	v_add_co_ci_u32_e32 v81, vcc_lo, 0, v77, vcc_lo
	;; [unrolled: 2-line block ×12, first 2 shown]
	s_clause 0x7
	global_load_dwordx4 v[48:51], v[48:49], off offset:672
	global_load_dwordx4 v[54:57], v[62:63], off offset:1056
	;; [unrolled: 1-line block ×8, first 2 shown]
	v_add_co_u32 v52, vcc_lo, 0x2000, v86
	v_add_co_ci_u32_e32 v53, vcc_lo, 0, v87, vcc_lo
	s_clause 0x3
	global_load_dwordx4 v[84:87], v[84:85], off offset:1760
	global_load_dwordx4 v[88:91], v[88:89], off offset:1760
	;; [unrolled: 1-line block ×4, first 2 shown]
	ds_read2_b64 v[100:103], v147 offset0:104 offset1:156
	ds_read2_b64 v[104:107], v147 offset1:52
	s_clause 0x3
	buffer_load_dword v108, off, s[44:47], 0 offset:8
	buffer_load_dword v109, off, s[44:47], 0 offset:12
	buffer_load_dword v154, off, s[44:47], 0
	buffer_load_dword v155, off, s[44:47], 0 offset:4
	v_lshrrev_b32_e32 v146, 4, v209
	v_add_nc_u32_e32 v52, 0x1000, v147
	v_add_nc_u32_e32 v53, 0x2000, v147
	;; [unrolled: 1-line block ×6, first 2 shown]
	v_lshrrev_b32_e32 v147, 4, v208
	s_waitcnt vmcnt(0)
	v_mov_b32_e32 v155, v145
	v_lshrrev_b32_e32 v144, 4, v210
	v_mul_hi_u32 v168, 0x1a41a41b, v147
	v_lshrrev_b32_e32 v170, 2, v168
	v_add_co_u32 v174, vcc_lo, s2, v108
	v_add_co_ci_u32_e32 v175, vcc_lo, s3, v109, vcc_lo
	ds_read2_b64 v[108:111], v52 offset0:8 offset1:60
	ds_read2_b64 v[112:115], v53 offset0:120 offset1:172
	;; [unrolled: 1-line block ×10, first 2 shown]
	v_add_co_u32 v152, vcc_lo, v174, v74
	v_add_co_ci_u32_e32 v153, vcc_lo, v175, v75, vcc_lo
	v_mul_hi_u32 v75, 0x1a41a41b, v146
	v_add_co_u32 v146, vcc_lo, 0x2000, v152
	v_add_co_ci_u32_e32 v147, vcc_lo, 0, v153, vcc_lo
	v_lshlrev_b64 v[52:53], 4, v[154:155]
	v_mul_hi_u32 v74, 0x1a41a41b, v144
	v_add_co_u32 v154, vcc_lo, 0x2800, v152
	v_add_co_ci_u32_e32 v155, vcc_lo, 0, v153, vcc_lo
	v_add_co_u32 v156, vcc_lo, 0x800, v152
	v_add_co_ci_u32_e32 v157, vcc_lo, 0, v153, vcc_lo
	;; [unrolled: 2-line block ×3, first 2 shown]
	v_lshrrev_b32_e32 v74, 2, v74
	v_add_co_u32 v160, vcc_lo, 0x1000, v152
	v_add_co_ci_u32_e32 v161, vcc_lo, 0, v153, vcc_lo
	v_add_co_u32 v162, vcc_lo, 0x3800, v152
	v_mad_u32_u24 v144, 0x270, v74, v210
	v_add_co_ci_u32_e32 v163, vcc_lo, 0, v153, vcc_lo
	v_lshrrev_b32_e32 v169, 2, v75
	v_add_co_u32 v164, vcc_lo, 0x1800, v152
	v_add_co_ci_u32_e32 v165, vcc_lo, 0, v153, vcc_lo
	v_add_co_u32 v166, vcc_lo, 0x4000, v152
	v_lshlrev_b64 v[74:75], 4, v[144:145]
	v_mad_u32_u24 v144, 0x270, v169, v209
	v_add_co_ci_u32_e32 v167, vcc_lo, 0, v153, vcc_lo
	v_add_co_u32 v168, vcc_lo, v174, v52
	v_add_co_ci_u32_e32 v169, vcc_lo, v175, v53, vcc_lo
	v_lshlrev_b64 v[52:53], 4, v[144:145]
	v_mad_u32_u24 v144, 0x270, v170, v208
	v_add_co_u32 v170, vcc_lo, v174, v74
	v_add_co_ci_u32_e32 v171, vcc_lo, v175, v75, vcc_lo
	v_lshlrev_b64 v[74:75], 4, v[144:145]
	v_add_co_u32 v144, vcc_lo, 0x2000, v170
	v_add_co_ci_u32_e32 v145, vcc_lo, 0, v171, vcc_lo
	v_add_co_u32 v172, vcc_lo, v174, v52
	v_add_co_ci_u32_e32 v173, vcc_lo, v175, v53, vcc_lo
	;; [unrolled: 2-line block ×3, first 2 shown]
	s_waitcnt lgkmcnt(8)
	v_mul_f64 v[52:53], v[48:49], v[114:115]
	v_mul_f64 v[74:75], v[50:51], v[114:115]
	;; [unrolled: 1-line block ×4, first 2 shown]
	s_waitcnt lgkmcnt(0)
	v_mul_f64 v[188:189], v[80:81], v[148:149]
	v_mul_f64 v[148:149], v[82:83], v[148:149]
	;; [unrolled: 1-line block ×20, first 2 shown]
	v_fma_f64 v[50:51], v[46:47], v[50:51], v[52:53]
	v_fma_f64 v[46:47], v[46:47], v[48:49], -v[74:75]
	v_fma_f64 v[48:49], v[44:45], v[64:65], v[114:115]
	v_fma_f64 v[44:45], v[44:45], v[62:63], -v[112:113]
	;; [unrolled: 2-line block ×5, first 2 shown]
	v_fma_f64 v[56:57], v[38:39], v[70:71], -v[130:131]
	v_fma_f64 v[58:59], v[36:37], v[68:69], v[186:187]
	v_fma_f64 v[60:61], v[36:37], v[66:67], -v[128:129]
	v_fma_f64 v[54:55], v[38:39], v[72:73], v[184:185]
	v_fma_f64 v[66:67], v[34:35], v[78:79], v[190:191]
	;; [unrolled: 1-line block ×5, first 2 shown]
	v_fma_f64 v[80:81], v[26:27], v[96:97], -v[150:151]
	v_fma_f64 v[72:73], v[34:35], v[76:77], -v[138:139]
	v_fma_f64 v[76:77], v[28:29], v[94:95], v[196:197]
	v_fma_f64 v[82:83], v[28:29], v[92:93], -v[140:141]
	v_fma_f64 v[86:87], v[30:31], v[88:89], -v[142:143]
	;; [unrolled: 1-line block ×3, first 2 shown]
	v_add_f64 v[26:27], v[110:111], -v[50:51]
	v_add_f64 v[30:31], v[108:109], -v[48:49]
	;; [unrolled: 1-line block ×24, first 2 shown]
	v_fma_f64 v[94:95], v[104:105], 2.0, -v[50:51]
	v_fma_f64 v[92:93], v[0:1], 2.0, -v[48:49]
	;; [unrolled: 1-line block ×10, first 2 shown]
	v_add_co_u32 v176, vcc_lo, 0x2000, v172
	v_fma_f64 v[102:103], v[102:103], 2.0, -v[62:63]
	v_fma_f64 v[112:113], v[106:107], 2.0, -v[70:71]
	;; [unrolled: 1-line block ×10, first 2 shown]
	v_add_co_ci_u32_e32 v177, vcc_lo, 0, v173, vcc_lo
	v_fma_f64 v[82:83], v[118:119], 2.0, -v[34:35]
	v_fma_f64 v[80:81], v[14:15], 2.0, -v[32:33]
	v_add_co_u32 v178, vcc_lo, 0x2000, v174
	v_fma_f64 v[76:77], v[16:17], 2.0, -v[28:29]
	v_add_co_ci_u32_e32 v179, vcc_lo, 0, v175, vcc_lo
	v_fma_f64 v[72:73], v[18:19], 2.0, -v[24:25]
	global_store_dwordx4 v[146:147], v[48:51], off offset:1792
	global_store_dwordx4 v[162:163], v[44:47], off offset:640
	;; [unrolled: 1-line block ×7, first 2 shown]
	global_store_dwordx4 v[168:169], v[56:59], off
	global_store_dwordx4 v[158:159], v[52:55], off offset:1856
	global_store_dwordx4 v[144:145], v[32:35], off offset:1792
	global_store_dwordx4 v[152:153], v[92:95], off
	global_store_dwordx4 v[160:161], v[20:23], off offset:896
	global_store_dwordx4 v[160:161], v[88:91], off offset:1728
	;; [unrolled: 1-line block ×8, first 2 shown]
	global_store_dwordx4 v[170:171], v[80:83], off
	global_store_dwordx4 v[172:173], v[76:79], off
	global_store_dwordx4 v[176:177], v[28:31], off offset:1792
	global_store_dwordx4 v[174:175], v[72:75], off
	global_store_dwordx4 v[178:179], v[24:27], off offset:1792
.LBB0_21:
	s_endpgm
	.section	.rodata,"a",@progbits
	.p2align	6, 0x0
	.amdhsa_kernel fft_rtc_fwd_len1248_factors_2_2_13_2_3_2_2_wgs_52_tpt_52_halfLds_dp_ip_CI_unitstride_sbrr_dirReg
		.amdhsa_group_segment_fixed_size 0
		.amdhsa_private_segment_fixed_size 32
		.amdhsa_kernarg_size 88
		.amdhsa_user_sgpr_count 6
		.amdhsa_user_sgpr_private_segment_buffer 1
		.amdhsa_user_sgpr_dispatch_ptr 0
		.amdhsa_user_sgpr_queue_ptr 0
		.amdhsa_user_sgpr_kernarg_segment_ptr 1
		.amdhsa_user_sgpr_dispatch_id 0
		.amdhsa_user_sgpr_flat_scratch_init 0
		.amdhsa_user_sgpr_private_segment_size 0
		.amdhsa_wavefront_size32 1
		.amdhsa_uses_dynamic_stack 0
		.amdhsa_system_sgpr_private_segment_wavefront_offset 1
		.amdhsa_system_sgpr_workgroup_id_x 1
		.amdhsa_system_sgpr_workgroup_id_y 0
		.amdhsa_system_sgpr_workgroup_id_z 0
		.amdhsa_system_sgpr_workgroup_info 0
		.amdhsa_system_vgpr_workitem_id 0
		.amdhsa_next_free_vgpr 256
		.amdhsa_next_free_sgpr 48
		.amdhsa_reserve_vcc 1
		.amdhsa_reserve_flat_scratch 0
		.amdhsa_float_round_mode_32 0
		.amdhsa_float_round_mode_16_64 0
		.amdhsa_float_denorm_mode_32 3
		.amdhsa_float_denorm_mode_16_64 3
		.amdhsa_dx10_clamp 1
		.amdhsa_ieee_mode 1
		.amdhsa_fp16_overflow 0
		.amdhsa_workgroup_processor_mode 1
		.amdhsa_memory_ordered 1
		.amdhsa_forward_progress 0
		.amdhsa_shared_vgpr_count 0
		.amdhsa_exception_fp_ieee_invalid_op 0
		.amdhsa_exception_fp_denorm_src 0
		.amdhsa_exception_fp_ieee_div_zero 0
		.amdhsa_exception_fp_ieee_overflow 0
		.amdhsa_exception_fp_ieee_underflow 0
		.amdhsa_exception_fp_ieee_inexact 0
		.amdhsa_exception_int_div_zero 0
	.end_amdhsa_kernel
	.text
.Lfunc_end0:
	.size	fft_rtc_fwd_len1248_factors_2_2_13_2_3_2_2_wgs_52_tpt_52_halfLds_dp_ip_CI_unitstride_sbrr_dirReg, .Lfunc_end0-fft_rtc_fwd_len1248_factors_2_2_13_2_3_2_2_wgs_52_tpt_52_halfLds_dp_ip_CI_unitstride_sbrr_dirReg
                                        ; -- End function
	.section	.AMDGPU.csdata,"",@progbits
; Kernel info:
; codeLenInByte = 20360
; NumSgprs: 50
; NumVgprs: 256
; ScratchSize: 32
; MemoryBound: 1
; FloatMode: 240
; IeeeMode: 1
; LDSByteSize: 0 bytes/workgroup (compile time only)
; SGPRBlocks: 6
; VGPRBlocks: 31
; NumSGPRsForWavesPerEU: 50
; NumVGPRsForWavesPerEU: 256
; Occupancy: 4
; WaveLimiterHint : 1
; COMPUTE_PGM_RSRC2:SCRATCH_EN: 1
; COMPUTE_PGM_RSRC2:USER_SGPR: 6
; COMPUTE_PGM_RSRC2:TRAP_HANDLER: 0
; COMPUTE_PGM_RSRC2:TGID_X_EN: 1
; COMPUTE_PGM_RSRC2:TGID_Y_EN: 0
; COMPUTE_PGM_RSRC2:TGID_Z_EN: 0
; COMPUTE_PGM_RSRC2:TIDIG_COMP_CNT: 0
	.text
	.p2alignl 6, 3214868480
	.fill 48, 4, 3214868480
	.type	__hip_cuid_ededa7e676aaa235,@object ; @__hip_cuid_ededa7e676aaa235
	.section	.bss,"aw",@nobits
	.globl	__hip_cuid_ededa7e676aaa235
__hip_cuid_ededa7e676aaa235:
	.byte	0                               ; 0x0
	.size	__hip_cuid_ededa7e676aaa235, 1

	.ident	"AMD clang version 19.0.0git (https://github.com/RadeonOpenCompute/llvm-project roc-6.4.0 25133 c7fe45cf4b819c5991fe208aaa96edf142730f1d)"
	.section	".note.GNU-stack","",@progbits
	.addrsig
	.addrsig_sym __hip_cuid_ededa7e676aaa235
	.amdgpu_metadata
---
amdhsa.kernels:
  - .args:
      - .actual_access:  read_only
        .address_space:  global
        .offset:         0
        .size:           8
        .value_kind:     global_buffer
      - .offset:         8
        .size:           8
        .value_kind:     by_value
      - .actual_access:  read_only
        .address_space:  global
        .offset:         16
        .size:           8
        .value_kind:     global_buffer
      - .actual_access:  read_only
        .address_space:  global
        .offset:         24
        .size:           8
        .value_kind:     global_buffer
      - .offset:         32
        .size:           8
        .value_kind:     by_value
      - .actual_access:  read_only
        .address_space:  global
        .offset:         40
        .size:           8
        .value_kind:     global_buffer
      - .actual_access:  read_only
        .address_space:  global
        .offset:         48
        .size:           8
        .value_kind:     global_buffer
      - .offset:         56
        .size:           4
        .value_kind:     by_value
      - .actual_access:  read_only
        .address_space:  global
        .offset:         64
        .size:           8
        .value_kind:     global_buffer
      - .actual_access:  read_only
        .address_space:  global
        .offset:         72
        .size:           8
        .value_kind:     global_buffer
      - .address_space:  global
        .offset:         80
        .size:           8
        .value_kind:     global_buffer
    .group_segment_fixed_size: 0
    .kernarg_segment_align: 8
    .kernarg_segment_size: 88
    .language:       OpenCL C
    .language_version:
      - 2
      - 0
    .max_flat_workgroup_size: 52
    .name:           fft_rtc_fwd_len1248_factors_2_2_13_2_3_2_2_wgs_52_tpt_52_halfLds_dp_ip_CI_unitstride_sbrr_dirReg
    .private_segment_fixed_size: 32
    .sgpr_count:     50
    .sgpr_spill_count: 0
    .symbol:         fft_rtc_fwd_len1248_factors_2_2_13_2_3_2_2_wgs_52_tpt_52_halfLds_dp_ip_CI_unitstride_sbrr_dirReg.kd
    .uniform_work_group_size: 1
    .uses_dynamic_stack: false
    .vgpr_count:     256
    .vgpr_spill_count: 9
    .wavefront_size: 32
    .workgroup_processor_mode: 1
amdhsa.target:   amdgcn-amd-amdhsa--gfx1030
amdhsa.version:
  - 1
  - 2
...

	.end_amdgpu_metadata
